;; amdgpu-corpus repo=zjin-lcf/HeCBench kind=compiled arch=gfx1030 opt=O3
	.amdgcn_target "amdgcn-amd-amdhsa--gfx1030"
	.amdhsa_code_object_version 6
	.text
	.protected	_Z6Match1PKfS0_PfPi     ; -- Begin function _Z6Match1PKfS0_PfPi
	.globl	_Z6Match1PKfS0_PfPi
	.p2align	8
	.type	_Z6Match1PKfS0_PfPi,@function
_Z6Match1PKfS0_PfPi:                    ; @_Z6Match1PKfS0_PfPi
; %bb.0:
	v_lshl_add_u32 v0, s6, 7, v0
	s_load_dwordx8 s[0:7], s[4:5], 0x0
	v_mov_b32_e32 v3, 0
	s_mov_b32 s8, 0
	v_lshlrev_b32_e32 v1, 7, v0
	v_ashrrev_i32_e32 v2, 31, v1
	v_lshlrev_b64 v[1:2], 2, v[1:2]
	s_waitcnt lgkmcnt(0)
	v_add_co_u32 v1, vcc_lo, s0, v1
	v_add_co_ci_u32_e64 v4, null, s1, v2, vcc_lo
	v_mov_b32_e32 v2, -1
	s_inst_prefetch 0x1
	.p2align	6
.LBB0_1:                                ; =>This Loop Header: Depth=1
                                        ;     Child Loop BB0_2 Depth 2
	v_mov_b32_e32 v5, 0
	s_mov_b64 s[0:1], 0
	.p2align	6
.LBB0_2:                                ;   Parent Loop BB0_1 Depth=1
                                        ; =>  This Inner Loop Header: Depth=2
	v_add_co_u32 v10, vcc_lo, v1, s0
	v_add_co_ci_u32_e64 v11, null, s1, v4, vcc_lo
	s_add_u32 s10, s2, s0
	s_addc_u32 s11, s3, s1
	s_add_u32 s0, s0, 32
	s_clause 0x1
	global_load_dwordx4 v[6:9], v[10:11], off
	global_load_dwordx4 v[10:13], v[10:11], off offset:16
	s_load_dwordx8 s[12:19], s[10:11], 0x0
	s_addc_u32 s1, s1, 0
	s_cmpk_eq_i32 s0, 0x200
	s_waitcnt vmcnt(1) lgkmcnt(0)
	v_fmac_f32_e32 v5, s12, v6
	v_fmac_f32_e32 v5, s13, v7
	;; [unrolled: 1-line block ×4, first 2 shown]
	s_waitcnt vmcnt(0)
	v_fmac_f32_e32 v5, s16, v10
	v_fmac_f32_e32 v5, s17, v11
	;; [unrolled: 1-line block ×4, first 2 shown]
	s_cbranch_scc0 .LBB0_2
; %bb.3:                                ;   in Loop: Header=BB0_1 Depth=1
	v_cmp_gt_f32_e32 vcc_lo, v5, v3
	v_cndmask_b32_e32 v3, v3, v5, vcc_lo
	v_cndmask_b32_e64 v2, v2, s8, vcc_lo
	s_add_i32 s8, s8, 1
	s_add_u32 s2, s2, 0x200
	s_addc_u32 s3, s3, 0
	s_cmpk_eq_i32 s8, 0x4000
	s_cbranch_scc0 .LBB0_1
; %bb.4:
	s_inst_prefetch 0x2
	v_ashrrev_i32_e32 v1, 31, v0
	v_lshlrev_b64 v[0:1], 2, v[0:1]
	v_add_co_u32 v4, vcc_lo, s4, v0
	v_add_co_ci_u32_e64 v5, null, s5, v1, vcc_lo
	v_add_co_u32 v0, vcc_lo, s6, v0
	v_add_co_ci_u32_e64 v1, null, s7, v1, vcc_lo
	global_store_dword v[4:5], v3, off
	global_store_dword v[0:1], v2, off
	s_endpgm
	.section	.rodata,"a",@progbits
	.p2align	6, 0x0
	.amdhsa_kernel _Z6Match1PKfS0_PfPi
		.amdhsa_group_segment_fixed_size 0
		.amdhsa_private_segment_fixed_size 0
		.amdhsa_kernarg_size 32
		.amdhsa_user_sgpr_count 6
		.amdhsa_user_sgpr_private_segment_buffer 1
		.amdhsa_user_sgpr_dispatch_ptr 0
		.amdhsa_user_sgpr_queue_ptr 0
		.amdhsa_user_sgpr_kernarg_segment_ptr 1
		.amdhsa_user_sgpr_dispatch_id 0
		.amdhsa_user_sgpr_flat_scratch_init 0
		.amdhsa_user_sgpr_private_segment_size 0
		.amdhsa_wavefront_size32 1
		.amdhsa_uses_dynamic_stack 0
		.amdhsa_system_sgpr_private_segment_wavefront_offset 0
		.amdhsa_system_sgpr_workgroup_id_x 1
		.amdhsa_system_sgpr_workgroup_id_y 0
		.amdhsa_system_sgpr_workgroup_id_z 0
		.amdhsa_system_sgpr_workgroup_info 0
		.amdhsa_system_vgpr_workitem_id 0
		.amdhsa_next_free_vgpr 14
		.amdhsa_next_free_sgpr 20
		.amdhsa_reserve_vcc 1
		.amdhsa_reserve_flat_scratch 0
		.amdhsa_float_round_mode_32 0
		.amdhsa_float_round_mode_16_64 0
		.amdhsa_float_denorm_mode_32 3
		.amdhsa_float_denorm_mode_16_64 3
		.amdhsa_dx10_clamp 1
		.amdhsa_ieee_mode 1
		.amdhsa_fp16_overflow 0
		.amdhsa_workgroup_processor_mode 1
		.amdhsa_memory_ordered 1
		.amdhsa_forward_progress 1
		.amdhsa_shared_vgpr_count 0
		.amdhsa_exception_fp_ieee_invalid_op 0
		.amdhsa_exception_fp_denorm_src 0
		.amdhsa_exception_fp_ieee_div_zero 0
		.amdhsa_exception_fp_ieee_overflow 0
		.amdhsa_exception_fp_ieee_underflow 0
		.amdhsa_exception_fp_ieee_inexact 0
		.amdhsa_exception_int_div_zero 0
	.end_amdhsa_kernel
	.text
.Lfunc_end0:
	.size	_Z6Match1PKfS0_PfPi, .Lfunc_end0-_Z6Match1PKfS0_PfPi
                                        ; -- End function
	.set _Z6Match1PKfS0_PfPi.num_vgpr, 14
	.set _Z6Match1PKfS0_PfPi.num_agpr, 0
	.set _Z6Match1PKfS0_PfPi.numbered_sgpr, 20
	.set _Z6Match1PKfS0_PfPi.num_named_barrier, 0
	.set _Z6Match1PKfS0_PfPi.private_seg_size, 0
	.set _Z6Match1PKfS0_PfPi.uses_vcc, 1
	.set _Z6Match1PKfS0_PfPi.uses_flat_scratch, 0
	.set _Z6Match1PKfS0_PfPi.has_dyn_sized_stack, 0
	.set _Z6Match1PKfS0_PfPi.has_recursion, 0
	.set _Z6Match1PKfS0_PfPi.has_indirect_call, 0
	.section	.AMDGPU.csdata,"",@progbits
; Kernel info:
; codeLenInByte = 408
; TotalNumSgprs: 22
; NumVgprs: 14
; ScratchSize: 0
; MemoryBound: 0
; FloatMode: 240
; IeeeMode: 1
; LDSByteSize: 0 bytes/workgroup (compile time only)
; SGPRBlocks: 0
; VGPRBlocks: 1
; NumSGPRsForWavesPerEU: 22
; NumVGPRsForWavesPerEU: 14
; Occupancy: 16
; WaveLimiterHint : 0
; COMPUTE_PGM_RSRC2:SCRATCH_EN: 0
; COMPUTE_PGM_RSRC2:USER_SGPR: 6
; COMPUTE_PGM_RSRC2:TRAP_HANDLER: 0
; COMPUTE_PGM_RSRC2:TGID_X_EN: 1
; COMPUTE_PGM_RSRC2:TGID_Y_EN: 0
; COMPUTE_PGM_RSRC2:TGID_Z_EN: 0
; COMPUTE_PGM_RSRC2:TIDIG_COMP_CNT: 0
	.text
	.protected	_Z6Match2PKfS0_PfPi     ; -- Begin function _Z6Match2PKfS0_PfPi
	.globl	_Z6Match2PKfS0_PfPi
	.p2align	8
	.type	_Z6Match2PKfS0_PfPi,@function
_Z6Match2PKfS0_PfPi:                    ; @_Z6Match2PKfS0_PfPi
; %bb.0:
	v_cmp_lt_u32_e64 s0, 15, v1
	v_cmp_lt_u32_e64 s1, 0x7f, v0
	v_lshlrev_b32_e32 v4, 9, v1
	v_cmp_gt_u32_e32 vcc_lo, 0x80, v0
                                        ; implicit-def: $vgpr5
	s_or_b32 s0, s0, s1
	s_and_saveexec_b32 s1, s0
	s_xor_b32 s0, exec_lo, s1
; %bb.1:
	v_lshlrev_b32_e32 v4, 9, v1
	v_lshl_add_u32 v5, v0, 2, v4
; %bb.2:
	s_or_saveexec_b32 s1, s0
	s_clause 0x1
	s_load_dwordx4 s[8:11], s[4:5], 0x8
	s_load_dwordx2 s[12:13], s[4:5], 0x18
	s_lshl_b32 s6, s6, 4
	s_xor_b32 exec_lo, exec_lo, s1
	s_cbranch_execz .LBB1_6
; %bb.3:
	s_load_dwordx2 s[2:3], s[4:5], 0x0
	v_or_b32_e32 v2, s6, v1
	v_lshl_add_u32 v5, v0, 2, v4
	v_mov_b32_e32 v6, v0
	s_mov_b32 s4, 0
	v_lshlrev_b32_e32 v2, 7, v2
	v_mov_b32_e32 v3, v5
	.p2align	6
.LBB1_4:                                ; =>This Inner Loop Header: Depth=1
	v_add_nc_u32_e32 v7, v2, v6
	v_ashrrev_i32_e32 v8, 31, v7
	v_lshlrev_b64 v[7:8], 2, v[7:8]
	s_waitcnt lgkmcnt(0)
	v_add_co_u32 v7, s0, s2, v7
	v_add_co_ci_u32_e64 v8, null, s3, v8, s0
	v_cmp_lt_u32_e64 s0, 0x6f, v6
	global_load_dword v7, v[7:8], off
	v_add_nc_u32_e32 v8, 16, v6
	s_or_b32 s4, s0, s4
	v_mov_b32_e32 v6, v8
	s_waitcnt vmcnt(0)
	ds_write_b32 v3, v7
	v_add_nc_u32_e32 v3, 64, v3
	s_andn2_b32 exec_lo, exec_lo, s4
	s_cbranch_execnz .LBB1_4
; %bb.5:
	s_or_b32 exec_lo, exec_lo, s4
.LBB1_6:
	s_or_b32 exec_lo, exec_lo, s1
	v_lshl_add_u32 v2, v1, 7, v0
	v_mov_b32_e32 v3, 0
	v_lshl_add_u32 v7, v0, 2, 0x4000
	v_lshlrev_b32_e32 v13, 6, v1
	v_cmp_eq_u32_e64 s0, 0, v1
	v_lshlrev_b32_e32 v6, 9, v0
	v_lshlrev_b64 v[10:11], 2, v[2:3]
	v_add_nc_u32_e32 v8, -16, v0
	v_add_nc_u32_e32 v9, 0x2000, v5
	v_mov_b32_e32 v12, -1
	s_mov_b32 s3, 0
	s_waitcnt lgkmcnt(0)
	v_add_co_u32 v1, s1, s8, v10
	v_add_co_ci_u32_e64 v2, null, s9, v11, s1
	v_add_nc_u32_e32 v10, 0x2000, v4
	v_add_nc_u32_e32 v11, v7, v13
	s_barrier
	buffer_gl0_inv
	s_and_saveexec_b32 s4, vcc_lo
	s_cbranch_execz .LBB1_9
.LBB1_7:
	v_mov_b32_e32 v5, v2
	v_mov_b32_e32 v4, v1
	;; [unrolled: 1-line block ×4, first 2 shown]
	s_mov_b32 s5, 0
.LBB1_8:                                ; =>This Inner Loop Header: Depth=1
	global_load_dword v15, v[4:5], off
	v_add_nc_u32_e32 v14, 16, v14
	v_add_co_u32 v4, s1, v4, 64
	v_add_co_ci_u32_e64 v5, null, 0, v5, s1
	v_cmp_lt_u32_e64 s2, 0x6f, v14
	s_or_b32 s5, s2, s5
	s_waitcnt vmcnt(0)
	ds_write_b32 v13, v15
	v_add_nc_u32_e32 v13, 64, v13
	s_andn2_b32 exec_lo, exec_lo, s5
	s_cbranch_execnz .LBB1_8
.LBB1_9:                                ; =>This Loop Header: Depth=1
                                        ;     Child Loop BB1_10 Depth 2
	s_or_b32 exec_lo, exec_lo, s4
	v_mov_b32_e32 v4, 0
	s_mov_b32 s1, 0
	s_waitcnt lgkmcnt(0)
	s_barrier
	buffer_gl0_inv
	s_inst_prefetch 0x1
	.p2align	6
.LBB1_10:                               ;   Parent Loop BB1_9 Depth=1
                                        ; =>  This Inner Loop Header: Depth=2
	v_add_nc_u32_e32 v5, s1, v10
	v_add_nc_u32_e32 v29, s1, v6
	s_add_i32 s1, s1, 64
	ds_read_b128 v[13:16], v5
	ds_read_b128 v[17:20], v29
	ds_read_b128 v[21:24], v29 offset:16
	ds_read_b128 v[25:28], v5 offset:16
	s_cmpk_eq_i32 s1, 0x200
	s_waitcnt lgkmcnt(2)
	v_fmac_f32_e32 v4, v17, v13
	v_fmac_f32_e32 v4, v18, v14
	;; [unrolled: 1-line block ×4, first 2 shown]
	ds_read_b128 v[13:16], v29 offset:32
	ds_read_b128 v[17:20], v5 offset:32
	s_waitcnt lgkmcnt(2)
	v_fmac_f32_e32 v4, v21, v25
	v_fmac_f32_e32 v4, v22, v26
	v_fmac_f32_e32 v4, v23, v27
	v_fmac_f32_e32 v4, v24, v28
	ds_read_b128 v[21:24], v29 offset:48
	ds_read_b128 v[25:28], v5 offset:48
	s_waitcnt lgkmcnt(2)
	v_fmac_f32_e32 v4, v13, v17
	v_fmac_f32_e32 v4, v14, v18
	v_fmac_f32_e32 v4, v15, v19
	v_fmac_f32_e32 v4, v16, v20
	s_waitcnt lgkmcnt(0)
	v_fmac_f32_e32 v4, v21, v25
	v_fmac_f32_e32 v4, v22, v26
	;; [unrolled: 1-line block ×4, first 2 shown]
	s_cbranch_scc0 .LBB1_10
; %bb.11:                               ;   in Loop: Header=BB1_9 Depth=1
	s_inst_prefetch 0x2
	ds_write_b32 v11, v4
	s_waitcnt lgkmcnt(0)
	s_barrier
	buffer_gl0_inv
	s_and_saveexec_b32 s2, s0
	s_cbranch_execz .LBB1_13
; %bb.12:                               ;   in Loop: Header=BB1_9 Depth=1
	ds_read2_b32 v[4:5], v7 offset1:16
	ds_read2_b32 v[13:14], v7 offset0:32 offset1:48
	s_or_b32 s4, s3, 1
	s_waitcnt lgkmcnt(1)
	v_cmp_gt_f32_e64 s1, v4, v3
	v_cndmask_b32_e64 v15, v3, v4, s1
	v_cndmask_b32_e64 v12, v12, s3, s1
	ds_read2_b32 v[3:4], v7 offset0:64 offset1:80
	v_cmp_gt_f32_e64 s1, v5, v15
	v_cndmask_b32_e64 v5, v15, v5, s1
	v_cndmask_b32_e64 v15, v12, s4, s1
	s_or_b32 s4, s3, 2
	s_waitcnt lgkmcnt(1)
	v_cmp_gt_f32_e64 s1, v13, v5
	v_cndmask_b32_e64 v5, v5, v13, s1
	v_cndmask_b32_e64 v15, v15, s4, s1
	s_or_b32 s4, s3, 3
	ds_read2_b32 v[12:13], v7 offset0:96 offset1:112
	v_cmp_gt_f32_e64 s1, v14, v5
	v_cndmask_b32_e64 v5, v5, v14, s1
	v_cndmask_b32_e64 v16, v15, s4, s1
	s_or_b32 s4, s3, 4
	ds_read2_b32 v[14:15], v7 offset0:128 offset1:144
	s_waitcnt lgkmcnt(2)
	v_cmp_gt_f32_e64 s1, v3, v5
	v_cndmask_b32_e64 v3, v5, v3, s1
	v_cndmask_b32_e64 v5, v16, s4, s1
	s_or_b32 s4, s3, 5
	v_cmp_gt_f32_e64 s1, v4, v3
	v_cndmask_b32_e64 v3, v3, v4, s1
	v_cndmask_b32_e64 v5, v5, s4, s1
	s_or_b32 s4, s3, 6
	s_waitcnt lgkmcnt(1)
	v_cmp_gt_f32_e64 s1, v12, v3
	v_cndmask_b32_e64 v12, v3, v12, s1
	v_cndmask_b32_e64 v5, v5, s4, s1
	s_or_b32 s4, s3, 7
	ds_read2_b32 v[3:4], v7 offset0:160 offset1:176
	v_cmp_gt_f32_e64 s1, v13, v12
	v_cndmask_b32_e64 v12, v12, v13, s1
	v_cndmask_b32_e64 v5, v5, s4, s1
	s_or_b32 s4, s3, 8
	s_waitcnt lgkmcnt(1)
	v_cmp_gt_f32_e64 s1, v14, v12
	v_cndmask_b32_e64 v14, v12, v14, s1
	v_cndmask_b32_e64 v5, v5, s4, s1
	s_or_b32 s4, s3, 9
	ds_read2_b32 v[12:13], v7 offset0:192 offset1:208
	;; [unrolled: 10-line block ×3, first 2 shown]
	v_cmp_gt_f32_e64 s1, v4, v3
	v_cndmask_b32_e64 v3, v3, v4, s1
	v_cndmask_b32_e64 v4, v5, s4, s1
	s_or_b32 s4, s3, 12
	s_waitcnt lgkmcnt(1)
	v_cmp_gt_f32_e64 s1, v12, v3
	v_cndmask_b32_e64 v3, v3, v12, s1
	v_cndmask_b32_e64 v4, v4, s4, s1
	s_or_b32 s4, s3, 13
	v_cmp_gt_f32_e64 s1, v13, v3
	v_cndmask_b32_e64 v3, v3, v13, s1
	v_cndmask_b32_e64 v4, v4, s4, s1
	s_or_b32 s4, s3, 14
	s_waitcnt lgkmcnt(0)
	v_cmp_gt_f32_e64 s1, v14, v3
	v_cndmask_b32_e64 v3, v3, v14, s1
	v_cndmask_b32_e64 v4, v4, s4, s1
	s_or_b32 s4, s3, 15
	v_cmp_gt_f32_e64 s1, v15, v3
	v_cndmask_b32_e64 v3, v3, v15, s1
	v_cndmask_b32_e64 v12, v4, s4, s1
.LBB1_13:                               ;   in Loop: Header=BB1_9 Depth=1
	s_or_b32 exec_lo, exec_lo, s2
	v_add_co_u32 v1, s1, 0x2000, v1
	v_add_co_ci_u32_e64 v2, null, 0, v2, s1
	s_add_i32 s1, s3, 16
	s_cmpk_gt_u32 s3, 0x3fef
	s_barrier
	buffer_gl0_inv
	s_cbranch_scc1 .LBB1_15
; %bb.14:                               ;   in Loop: Header=BB1_9 Depth=1
	s_mov_b32 s3, s1
	s_and_saveexec_b32 s4, vcc_lo
	s_cbranch_execnz .LBB1_7
	s_branch .LBB1_9
.LBB1_15:
	s_and_saveexec_b32 s1, s0
	s_cbranch_execz .LBB1_17
; %bb.16:
	v_add_nc_u32_e32 v0, s6, v0
	v_ashrrev_i32_e32 v1, 31, v0
	v_lshlrev_b64 v[0:1], 2, v[0:1]
	v_add_co_u32 v4, vcc_lo, s10, v0
	v_add_co_ci_u32_e64 v5, null, s11, v1, vcc_lo
	v_add_co_u32 v0, vcc_lo, s12, v0
	v_add_co_ci_u32_e64 v1, null, s13, v1, vcc_lo
	global_store_dword v[4:5], v3, off
	global_store_dword v[0:1], v12, off
.LBB1_17:
	s_endpgm
	.section	.rodata,"a",@progbits
	.p2align	6, 0x0
	.amdhsa_kernel _Z6Match2PKfS0_PfPi
		.amdhsa_group_segment_fixed_size 17408
		.amdhsa_private_segment_fixed_size 0
		.amdhsa_kernarg_size 32
		.amdhsa_user_sgpr_count 6
		.amdhsa_user_sgpr_private_segment_buffer 1
		.amdhsa_user_sgpr_dispatch_ptr 0
		.amdhsa_user_sgpr_queue_ptr 0
		.amdhsa_user_sgpr_kernarg_segment_ptr 1
		.amdhsa_user_sgpr_dispatch_id 0
		.amdhsa_user_sgpr_flat_scratch_init 0
		.amdhsa_user_sgpr_private_segment_size 0
		.amdhsa_wavefront_size32 1
		.amdhsa_uses_dynamic_stack 0
		.amdhsa_system_sgpr_private_segment_wavefront_offset 0
		.amdhsa_system_sgpr_workgroup_id_x 1
		.amdhsa_system_sgpr_workgroup_id_y 0
		.amdhsa_system_sgpr_workgroup_id_z 0
		.amdhsa_system_sgpr_workgroup_info 0
		.amdhsa_system_vgpr_workitem_id 1
		.amdhsa_next_free_vgpr 30
		.amdhsa_next_free_sgpr 14
		.amdhsa_reserve_vcc 1
		.amdhsa_reserve_flat_scratch 0
		.amdhsa_float_round_mode_32 0
		.amdhsa_float_round_mode_16_64 0
		.amdhsa_float_denorm_mode_32 3
		.amdhsa_float_denorm_mode_16_64 3
		.amdhsa_dx10_clamp 1
		.amdhsa_ieee_mode 1
		.amdhsa_fp16_overflow 0
		.amdhsa_workgroup_processor_mode 1
		.amdhsa_memory_ordered 1
		.amdhsa_forward_progress 1
		.amdhsa_shared_vgpr_count 0
		.amdhsa_exception_fp_ieee_invalid_op 0
		.amdhsa_exception_fp_denorm_src 0
		.amdhsa_exception_fp_ieee_div_zero 0
		.amdhsa_exception_fp_ieee_overflow 0
		.amdhsa_exception_fp_ieee_underflow 0
		.amdhsa_exception_fp_ieee_inexact 0
		.amdhsa_exception_int_div_zero 0
	.end_amdhsa_kernel
	.text
.Lfunc_end1:
	.size	_Z6Match2PKfS0_PfPi, .Lfunc_end1-_Z6Match2PKfS0_PfPi
                                        ; -- End function
	.set _Z6Match2PKfS0_PfPi.num_vgpr, 30
	.set _Z6Match2PKfS0_PfPi.num_agpr, 0
	.set _Z6Match2PKfS0_PfPi.numbered_sgpr, 14
	.set _Z6Match2PKfS0_PfPi.num_named_barrier, 0
	.set _Z6Match2PKfS0_PfPi.private_seg_size, 0
	.set _Z6Match2PKfS0_PfPi.uses_vcc, 1
	.set _Z6Match2PKfS0_PfPi.uses_flat_scratch, 0
	.set _Z6Match2PKfS0_PfPi.has_dyn_sized_stack, 0
	.set _Z6Match2PKfS0_PfPi.has_recursion, 0
	.set _Z6Match2PKfS0_PfPi.has_indirect_call, 0
	.section	.AMDGPU.csdata,"",@progbits
; Kernel info:
; codeLenInByte = 1392
; TotalNumSgprs: 16
; NumVgprs: 30
; ScratchSize: 0
; MemoryBound: 0
; FloatMode: 240
; IeeeMode: 1
; LDSByteSize: 17408 bytes/workgroup (compile time only)
; SGPRBlocks: 0
; VGPRBlocks: 3
; NumSGPRsForWavesPerEU: 16
; NumVGPRsForWavesPerEU: 30
; Occupancy: 16
; WaveLimiterHint : 0
; COMPUTE_PGM_RSRC2:SCRATCH_EN: 0
; COMPUTE_PGM_RSRC2:USER_SGPR: 6
; COMPUTE_PGM_RSRC2:TRAP_HANDLER: 0
; COMPUTE_PGM_RSRC2:TGID_X_EN: 1
; COMPUTE_PGM_RSRC2:TGID_Y_EN: 0
; COMPUTE_PGM_RSRC2:TGID_Z_EN: 0
; COMPUTE_PGM_RSRC2:TIDIG_COMP_CNT: 1
	.text
	.protected	_Z6Match3PKfS0_PfPi     ; -- Begin function _Z6Match3PKfS0_PfPi
	.globl	_Z6Match3PKfS0_PfPi
	.p2align	8
	.type	_Z6Match3PKfS0_PfPi,@function
_Z6Match3PKfS0_PfPi:                    ; @_Z6Match3PKfS0_PfPi
; %bb.0:
	v_cmp_lt_u32_e64 s0, 15, v1
	v_cmp_lt_u32_e64 s1, 0x7f, v0
	v_lshlrev_b32_e32 v4, 2, v0
	v_cmp_gt_u32_e32 vcc_lo, 0x80, v0
	s_or_b32 s0, s0, s1
	s_and_saveexec_b32 s1, s0
	s_xor_b32 s0, exec_lo, s1
; %bb.1:
	v_lshlrev_b32_e32 v4, 2, v0
; %bb.2:
	s_or_saveexec_b32 s1, s0
	s_clause 0x1
	s_load_dwordx4 s[8:11], s[4:5], 0x8
	s_load_dwordx2 s[12:13], s[4:5], 0x18
	s_lshl_b32 s6, s6, 4
	s_xor_b32 exec_lo, exec_lo, s1
	s_cbranch_execz .LBB2_6
; %bb.3:
	s_load_dwordx2 s[2:3], s[4:5], 0x0
	v_or_b32_e32 v2, s6, v1
	v_mad_u32_u24 v3, 0x204, v1, v4
	v_mov_b32_e32 v5, v0
	s_mov_b32 s4, 0
	v_lshlrev_b32_e32 v2, 7, v2
	.p2align	6
.LBB2_4:                                ; =>This Inner Loop Header: Depth=1
	v_add_nc_u32_e32 v6, v2, v5
	v_ashrrev_i32_e32 v7, 31, v6
	v_lshlrev_b64 v[6:7], 2, v[6:7]
	s_waitcnt lgkmcnt(0)
	v_add_co_u32 v6, s0, s2, v6
	v_add_co_ci_u32_e64 v7, null, s3, v7, s0
	v_cmp_lt_u32_e64 s0, 0x6f, v5
	global_load_dword v6, v[6:7], off
	v_add_nc_u32_e32 v7, 16, v5
	s_or_b32 s4, s0, s4
	v_mov_b32_e32 v5, v7
	s_waitcnt vmcnt(0)
	ds_write_b32 v3, v6
	v_add_nc_u32_e32 v3, 64, v3
	s_andn2_b32 exec_lo, exec_lo, s4
	s_cbranch_execnz .LBB2_4
; %bb.5:
	s_or_b32 exec_lo, exec_lo, s4
.LBB2_6:
	s_or_b32 exec_lo, exec_lo, s1
	v_lshl_add_u32 v2, v1, 7, v0
	v_mov_b32_e32 v3, 0
	v_lshl_add_u32 v7, v0, 2, 0x4040
	v_lshl_add_u32 v8, v1, 9, 0x2040
	v_lshlrev_b32_e32 v5, 6, v1
	v_cmp_eq_u32_e64 s0, 0, v1
	v_lshlrev_b64 v[11:12], 2, v[2:3]
	v_mul_u32_u24_e32 v6, 0x204, v0
	v_add_nc_u32_e32 v9, -16, v0
	v_add_nc_u32_e32 v10, v8, v4
	s_mov_b32 s3, 0
	s_waitcnt lgkmcnt(0)
	v_add_co_u32 v1, s1, s8, v11
	v_add_co_ci_u32_e64 v2, null, s9, v12, s1
	v_mov_b32_e32 v12, -1
	v_add_nc_u32_e32 v11, v7, v5
	s_barrier
	buffer_gl0_inv
	s_and_saveexec_b32 s4, vcc_lo
	s_cbranch_execz .LBB2_9
.LBB2_7:
	v_mov_b32_e32 v5, v2
	v_mov_b32_e32 v4, v1
	;; [unrolled: 1-line block ×4, first 2 shown]
	s_mov_b32 s5, 0
.LBB2_8:                                ; =>This Inner Loop Header: Depth=1
	global_load_dword v15, v[4:5], off
	v_add_nc_u32_e32 v14, 16, v14
	v_add_co_u32 v4, s1, v4, 64
	v_add_co_ci_u32_e64 v5, null, 0, v5, s1
	v_cmp_lt_u32_e64 s2, 0x6f, v14
	s_or_b32 s5, s2, s5
	s_waitcnt vmcnt(0)
	ds_write_b32 v13, v15
	v_add_nc_u32_e32 v13, 64, v13
	s_andn2_b32 exec_lo, exec_lo, s5
	s_cbranch_execnz .LBB2_8
.LBB2_9:                                ; =>This Loop Header: Depth=1
                                        ;     Child Loop BB2_10 Depth 2
	s_or_b32 exec_lo, exec_lo, s4
	v_mov_b32_e32 v4, 0
	s_mov_b32 s1, 0
	s_waitcnt lgkmcnt(0)
	s_barrier
	buffer_gl0_inv
	s_inst_prefetch 0x1
	.p2align	6
.LBB2_10:                               ;   Parent Loop BB2_9 Depth=1
                                        ; =>  This Inner Loop Header: Depth=2
	v_add_nc_u32_e32 v5, s1, v8
	v_add_nc_u32_e32 v29, s1, v6
	s_add_i32 s1, s1, 64
	ds_read_b128 v[13:16], v5
	ds_read2_b32 v[21:22], v29 offset1:1
	ds_read2_b32 v[23:24], v29 offset0:2 offset1:3
	ds_read_b128 v[17:20], v5 offset:16
	ds_read2_b32 v[25:26], v29 offset0:4 offset1:5
	ds_read2_b32 v[27:28], v29 offset0:6 offset1:7
	s_cmpk_eq_i32 s1, 0x200
	s_waitcnt lgkmcnt(4)
	v_fmac_f32_e32 v4, v21, v13
	v_fmac_f32_e32 v4, v22, v14
	s_waitcnt lgkmcnt(3)
	v_fmac_f32_e32 v4, v23, v15
	v_fmac_f32_e32 v4, v24, v16
	ds_read_b128 v[13:16], v5 offset:32
	ds_read2_b32 v[21:22], v29 offset0:8 offset1:9
	ds_read2_b32 v[23:24], v29 offset0:10 offset1:11
	s_waitcnt lgkmcnt(4)
	v_fmac_f32_e32 v4, v25, v17
	v_fmac_f32_e32 v4, v26, v18
	s_waitcnt lgkmcnt(3)
	v_fmac_f32_e32 v4, v27, v19
	v_fmac_f32_e32 v4, v28, v20
	ds_read_b128 v[17:20], v5 offset:48
	ds_read2_b32 v[25:26], v29 offset0:12 offset1:13
	ds_read2_b32 v[27:28], v29 offset0:14 offset1:15
	s_waitcnt lgkmcnt(4)
	v_fmac_f32_e32 v4, v21, v13
	v_fmac_f32_e32 v4, v22, v14
	s_waitcnt lgkmcnt(3)
	v_fmac_f32_e32 v4, v23, v15
	v_fmac_f32_e32 v4, v24, v16
	;; [unrolled: 3-line block ×4, first 2 shown]
	s_cbranch_scc0 .LBB2_10
; %bb.11:                               ;   in Loop: Header=BB2_9 Depth=1
	s_inst_prefetch 0x2
	ds_write_b32 v11, v4
	s_waitcnt lgkmcnt(0)
	s_barrier
	buffer_gl0_inv
	s_and_saveexec_b32 s2, s0
	s_cbranch_execz .LBB2_13
; %bb.12:                               ;   in Loop: Header=BB2_9 Depth=1
	ds_read2_b32 v[4:5], v7 offset1:16
	ds_read2_b32 v[13:14], v7 offset0:32 offset1:48
	s_or_b32 s4, s3, 1
	s_waitcnt lgkmcnt(1)
	v_cmp_gt_f32_e64 s1, v4, v3
	v_cndmask_b32_e64 v15, v3, v4, s1
	v_cndmask_b32_e64 v12, v12, s3, s1
	ds_read2_b32 v[3:4], v7 offset0:64 offset1:80
	v_cmp_gt_f32_e64 s1, v5, v15
	v_cndmask_b32_e64 v5, v15, v5, s1
	v_cndmask_b32_e64 v15, v12, s4, s1
	s_or_b32 s4, s3, 2
	s_waitcnt lgkmcnt(1)
	v_cmp_gt_f32_e64 s1, v13, v5
	v_cndmask_b32_e64 v5, v5, v13, s1
	v_cndmask_b32_e64 v15, v15, s4, s1
	s_or_b32 s4, s3, 3
	ds_read2_b32 v[12:13], v7 offset0:96 offset1:112
	v_cmp_gt_f32_e64 s1, v14, v5
	v_cndmask_b32_e64 v5, v5, v14, s1
	v_cndmask_b32_e64 v16, v15, s4, s1
	s_or_b32 s4, s3, 4
	ds_read2_b32 v[14:15], v7 offset0:128 offset1:144
	s_waitcnt lgkmcnt(2)
	v_cmp_gt_f32_e64 s1, v3, v5
	v_cndmask_b32_e64 v3, v5, v3, s1
	v_cndmask_b32_e64 v5, v16, s4, s1
	s_or_b32 s4, s3, 5
	v_cmp_gt_f32_e64 s1, v4, v3
	v_cndmask_b32_e64 v3, v3, v4, s1
	v_cndmask_b32_e64 v5, v5, s4, s1
	s_or_b32 s4, s3, 6
	s_waitcnt lgkmcnt(1)
	v_cmp_gt_f32_e64 s1, v12, v3
	v_cndmask_b32_e64 v12, v3, v12, s1
	v_cndmask_b32_e64 v5, v5, s4, s1
	s_or_b32 s4, s3, 7
	ds_read2_b32 v[3:4], v7 offset0:160 offset1:176
	v_cmp_gt_f32_e64 s1, v13, v12
	v_cndmask_b32_e64 v12, v12, v13, s1
	v_cndmask_b32_e64 v5, v5, s4, s1
	s_or_b32 s4, s3, 8
	s_waitcnt lgkmcnt(1)
	v_cmp_gt_f32_e64 s1, v14, v12
	v_cndmask_b32_e64 v14, v12, v14, s1
	v_cndmask_b32_e64 v5, v5, s4, s1
	s_or_b32 s4, s3, 9
	ds_read2_b32 v[12:13], v7 offset0:192 offset1:208
	;; [unrolled: 10-line block ×3, first 2 shown]
	v_cmp_gt_f32_e64 s1, v4, v3
	v_cndmask_b32_e64 v3, v3, v4, s1
	v_cndmask_b32_e64 v4, v5, s4, s1
	s_or_b32 s4, s3, 12
	s_waitcnt lgkmcnt(1)
	v_cmp_gt_f32_e64 s1, v12, v3
	v_cndmask_b32_e64 v3, v3, v12, s1
	v_cndmask_b32_e64 v4, v4, s4, s1
	s_or_b32 s4, s3, 13
	v_cmp_gt_f32_e64 s1, v13, v3
	v_cndmask_b32_e64 v3, v3, v13, s1
	v_cndmask_b32_e64 v4, v4, s4, s1
	s_or_b32 s4, s3, 14
	s_waitcnt lgkmcnt(0)
	v_cmp_gt_f32_e64 s1, v14, v3
	v_cndmask_b32_e64 v3, v3, v14, s1
	v_cndmask_b32_e64 v4, v4, s4, s1
	s_or_b32 s4, s3, 15
	v_cmp_gt_f32_e64 s1, v15, v3
	v_cndmask_b32_e64 v3, v3, v15, s1
	v_cndmask_b32_e64 v12, v4, s4, s1
.LBB2_13:                               ;   in Loop: Header=BB2_9 Depth=1
	s_or_b32 exec_lo, exec_lo, s2
	v_add_co_u32 v1, s1, 0x2000, v1
	v_add_co_ci_u32_e64 v2, null, 0, v2, s1
	s_add_i32 s1, s3, 16
	s_cmpk_gt_u32 s3, 0x3fef
	s_barrier
	buffer_gl0_inv
	s_cbranch_scc1 .LBB2_15
; %bb.14:                               ;   in Loop: Header=BB2_9 Depth=1
	s_mov_b32 s3, s1
	s_and_saveexec_b32 s4, vcc_lo
	s_cbranch_execnz .LBB2_7
	s_branch .LBB2_9
.LBB2_15:
	s_and_saveexec_b32 s1, s0
	s_cbranch_execz .LBB2_17
; %bb.16:
	v_add_nc_u32_e32 v0, s6, v0
	v_ashrrev_i32_e32 v1, 31, v0
	v_lshlrev_b64 v[0:1], 2, v[0:1]
	v_add_co_u32 v4, vcc_lo, s10, v0
	v_add_co_ci_u32_e64 v5, null, s11, v1, vcc_lo
	v_add_co_u32 v0, vcc_lo, s12, v0
	v_add_co_ci_u32_e64 v1, null, s13, v1, vcc_lo
	global_store_dword v[4:5], v3, off
	global_store_dword v[0:1], v12, off
.LBB2_17:
	s_endpgm
	.section	.rodata,"a",@progbits
	.p2align	6, 0x0
	.amdhsa_kernel _Z6Match3PKfS0_PfPi
		.amdhsa_group_segment_fixed_size 17472
		.amdhsa_private_segment_fixed_size 0
		.amdhsa_kernarg_size 32
		.amdhsa_user_sgpr_count 6
		.amdhsa_user_sgpr_private_segment_buffer 1
		.amdhsa_user_sgpr_dispatch_ptr 0
		.amdhsa_user_sgpr_queue_ptr 0
		.amdhsa_user_sgpr_kernarg_segment_ptr 1
		.amdhsa_user_sgpr_dispatch_id 0
		.amdhsa_user_sgpr_flat_scratch_init 0
		.amdhsa_user_sgpr_private_segment_size 0
		.amdhsa_wavefront_size32 1
		.amdhsa_uses_dynamic_stack 0
		.amdhsa_system_sgpr_private_segment_wavefront_offset 0
		.amdhsa_system_sgpr_workgroup_id_x 1
		.amdhsa_system_sgpr_workgroup_id_y 0
		.amdhsa_system_sgpr_workgroup_id_z 0
		.amdhsa_system_sgpr_workgroup_info 0
		.amdhsa_system_vgpr_workitem_id 1
		.amdhsa_next_free_vgpr 30
		.amdhsa_next_free_sgpr 14
		.amdhsa_reserve_vcc 1
		.amdhsa_reserve_flat_scratch 0
		.amdhsa_float_round_mode_32 0
		.amdhsa_float_round_mode_16_64 0
		.amdhsa_float_denorm_mode_32 3
		.amdhsa_float_denorm_mode_16_64 3
		.amdhsa_dx10_clamp 1
		.amdhsa_ieee_mode 1
		.amdhsa_fp16_overflow 0
		.amdhsa_workgroup_processor_mode 1
		.amdhsa_memory_ordered 1
		.amdhsa_forward_progress 1
		.amdhsa_shared_vgpr_count 0
		.amdhsa_exception_fp_ieee_invalid_op 0
		.amdhsa_exception_fp_denorm_src 0
		.amdhsa_exception_fp_ieee_div_zero 0
		.amdhsa_exception_fp_ieee_overflow 0
		.amdhsa_exception_fp_ieee_underflow 0
		.amdhsa_exception_fp_ieee_inexact 0
		.amdhsa_exception_int_div_zero 0
	.end_amdhsa_kernel
	.text
.Lfunc_end2:
	.size	_Z6Match3PKfS0_PfPi, .Lfunc_end2-_Z6Match3PKfS0_PfPi
                                        ; -- End function
	.set _Z6Match3PKfS0_PfPi.num_vgpr, 30
	.set _Z6Match3PKfS0_PfPi.num_agpr, 0
	.set _Z6Match3PKfS0_PfPi.numbered_sgpr, 14
	.set _Z6Match3PKfS0_PfPi.num_named_barrier, 0
	.set _Z6Match3PKfS0_PfPi.private_seg_size, 0
	.set _Z6Match3PKfS0_PfPi.uses_vcc, 1
	.set _Z6Match3PKfS0_PfPi.uses_flat_scratch, 0
	.set _Z6Match3PKfS0_PfPi.has_dyn_sized_stack, 0
	.set _Z6Match3PKfS0_PfPi.has_recursion, 0
	.set _Z6Match3PKfS0_PfPi.has_indirect_call, 0
	.section	.AMDGPU.csdata,"",@progbits
; Kernel info:
; codeLenInByte = 1440
; TotalNumSgprs: 16
; NumVgprs: 30
; ScratchSize: 0
; MemoryBound: 0
; FloatMode: 240
; IeeeMode: 1
; LDSByteSize: 17472 bytes/workgroup (compile time only)
; SGPRBlocks: 0
; VGPRBlocks: 3
; NumSGPRsForWavesPerEU: 16
; NumVGPRsForWavesPerEU: 30
; Occupancy: 16
; WaveLimiterHint : 0
; COMPUTE_PGM_RSRC2:SCRATCH_EN: 0
; COMPUTE_PGM_RSRC2:USER_SGPR: 6
; COMPUTE_PGM_RSRC2:TRAP_HANDLER: 0
; COMPUTE_PGM_RSRC2:TGID_X_EN: 1
; COMPUTE_PGM_RSRC2:TGID_Y_EN: 0
; COMPUTE_PGM_RSRC2:TGID_Z_EN: 0
; COMPUTE_PGM_RSRC2:TIDIG_COMP_CNT: 1
	.text
	.protected	_Z6Match4PKfS0_PfPi     ; -- Begin function _Z6Match4PKfS0_PfPi
	.globl	_Z6Match4PKfS0_PfPi
	.p2align	8
	.type	_Z6Match4PKfS0_PfPi,@function
_Z6Match4PKfS0_PfPi:                    ; @_Z6Match4PKfS0_PfPi
; %bb.0:
	v_cmp_lt_u32_e64 s0, 15, v1
	v_cmp_lt_u32_e64 s1, 31, v0
	v_lshlrev_b32_e32 v4, 4, v0
	v_cmp_gt_u32_e32 vcc_lo, 32, v0
	s_or_b32 s0, s0, s1
	s_and_saveexec_b32 s1, s0
	s_xor_b32 s0, exec_lo, s1
; %bb.1:
	v_lshlrev_b32_e32 v4, 4, v0
; %bb.2:
	s_or_saveexec_b32 s1, s0
	s_clause 0x1
	s_load_dwordx4 s[8:11], s[4:5], 0x8
	s_load_dwordx2 s[2:3], s[4:5], 0x18
	s_lshl_b32 s6, s6, 4
	s_xor_b32 exec_lo, exec_lo, s1
	s_cbranch_execz .LBB3_6
; %bb.3:
	s_load_dwordx2 s[4:5], s[4:5], 0x0
	v_or_b32_e32 v2, s6, v1
	v_mad_u32_u24 v3, 0x210, v1, v4
	v_mov_b32_e32 v5, v0
	s_mov_b32 s7, 0
	v_lshlrev_b32_e32 v2, 5, v2
	.p2align	6
.LBB3_4:                                ; =>This Inner Loop Header: Depth=1
	v_add_nc_u32_e32 v6, v2, v5
	v_add_nc_u32_e32 v10, 16, v5
	v_ashrrev_i32_e32 v7, 31, v6
	v_lshlrev_b64 v[6:7], 4, v[6:7]
	s_waitcnt lgkmcnt(0)
	v_add_co_u32 v6, s0, s4, v6
	v_add_co_ci_u32_e64 v7, null, s5, v7, s0
	v_cmp_lt_u32_e64 s0, 15, v5
	v_mov_b32_e32 v5, v10
	global_load_dwordx4 v[6:9], v[6:7], off
	s_or_b32 s7, s0, s7
	s_waitcnt vmcnt(0)
	ds_write_b128 v3, v[6:9]
	v_add_nc_u32_e32 v3, 0x100, v3
	s_andn2_b32 exec_lo, exec_lo, s7
	s_cbranch_execnz .LBB3_4
; %bb.5:
	s_or_b32 exec_lo, exec_lo, s7
.LBB3_6:
	s_or_b32 exec_lo, exec_lo, s1
	v_lshl_add_u32 v2, v1, 5, v0
	v_mov_b32_e32 v3, 0
	v_lshlrev_b32_e32 v5, 9, v1
	v_lshl_add_u32 v7, v0, 2, 0x4100
	v_lshlrev_b32_e32 v13, 6, v1
	v_cmp_eq_u32_e64 s0, 0, v1
	v_lshlrev_b64 v[11:12], 4, v[2:3]
	v_mul_u32_u24_e32 v6, 0x210, v0
	v_add_nc_u32_e32 v8, 0x2100, v5
	v_add_nc_u32_e32 v9, -16, v0
	v_add3_u32 v10, v5, v4, 0x2100
	s_mov_b32 s4, 0
	s_waitcnt lgkmcnt(0)
	v_add_co_u32 v1, s1, s8, v11
	v_add_co_ci_u32_e64 v2, null, s9, v12, s1
	v_mov_b32_e32 v12, -1
	v_add_nc_u32_e32 v11, v7, v13
	s_barrier
	buffer_gl0_inv
	s_and_saveexec_b32 s5, vcc_lo
	s_cbranch_execz .LBB3_9
.LBB3_7:
	v_mov_b32_e32 v5, v2
	v_mov_b32_e32 v4, v1
	v_mov_b32_e32 v13, v10
	v_mov_b32_e32 v14, v9
	s_mov_b32 s7, 0
	.p2align	6
.LBB3_8:                                ; =>This Inner Loop Header: Depth=1
	global_load_dwordx4 v[15:18], v[4:5], off
	v_add_co_u32 v14, s8, v14, 16
	v_add_co_u32 v4, s1, 0x100, v4
	v_add_co_ci_u32_e64 v5, null, 0, v5, s1
	s_xor_b32 s1, s8, -1
	s_and_b32 s1, exec_lo, s1
	s_or_b32 s7, s1, s7
	s_waitcnt vmcnt(0)
	ds_write_b128 v13, v[15:18]
	v_add_nc_u32_e32 v13, 0x100, v13
	s_andn2_b32 exec_lo, exec_lo, s7
	s_cbranch_execnz .LBB3_8
.LBB3_9:                                ; =>This Inner Loop Header: Depth=1
	s_or_b32 exec_lo, exec_lo, s5
	s_waitcnt lgkmcnt(0)
	s_barrier
	buffer_gl0_inv
	ds_read_b128 v[13:16], v8
	ds_read_b128 v[17:20], v6
	ds_read_b128 v[21:24], v6 offset:16
	ds_read_b128 v[25:28], v8 offset:16
	s_waitcnt lgkmcnt(2)
	v_fma_f32 v4, v17, v13, 0
	v_fmac_f32_e32 v4, v18, v14
	v_fmac_f32_e32 v4, v19, v15
	v_fmac_f32_e32 v4, v20, v16
	ds_read_b128 v[13:16], v6 offset:32
	ds_read_b128 v[17:20], v8 offset:32
	s_waitcnt lgkmcnt(2)
	v_fmac_f32_e32 v4, v21, v25
	v_fmac_f32_e32 v4, v22, v26
	v_fmac_f32_e32 v4, v23, v27
	v_fmac_f32_e32 v4, v24, v28
	ds_read_b128 v[21:24], v6 offset:48
	ds_read_b128 v[25:28], v8 offset:48
	s_waitcnt lgkmcnt(2)
	v_fmac_f32_e32 v4, v13, v17
	;; [unrolled: 7-line block ×30, first 2 shown]
	v_fmac_f32_e32 v4, v14, v18
	v_fmac_f32_e32 v4, v15, v19
	;; [unrolled: 1-line block ×3, first 2 shown]
	s_waitcnt lgkmcnt(0)
	v_fmac_f32_e32 v4, v21, v25
	v_fmac_f32_e32 v4, v22, v26
	;; [unrolled: 1-line block ×4, first 2 shown]
	ds_write_b32 v11, v4
	s_waitcnt lgkmcnt(0)
	s_barrier
	buffer_gl0_inv
	s_and_saveexec_b32 s5, s0
	s_cbranch_execz .LBB3_11
; %bb.10:                               ;   in Loop: Header=BB3_9 Depth=1
	ds_read2_b32 v[4:5], v7 offset1:16
	ds_read2_b32 v[13:14], v7 offset0:32 offset1:48
	s_or_b32 s7, s4, 1
	s_waitcnt lgkmcnt(1)
	v_cmp_gt_f32_e64 s1, v4, v3
	v_cndmask_b32_e64 v3, v3, v4, s1
	v_cndmask_b32_e64 v12, v12, s4, s1
	v_cmp_gt_f32_e64 s1, v5, v3
	v_cndmask_b32_e64 v5, v3, v5, s1
	v_cndmask_b32_e64 v12, v12, s7, s1
	ds_read2_b32 v[3:4], v7 offset0:64 offset1:80
	s_or_b32 s7, s4, 2
	s_waitcnt lgkmcnt(1)
	v_cmp_gt_f32_e64 s1, v13, v5
	v_cndmask_b32_e64 v5, v5, v13, s1
	v_cndmask_b32_e64 v12, v12, s7, s1
	s_or_b32 s7, s4, 3
	v_cmp_gt_f32_e64 s1, v14, v5
	v_cndmask_b32_e64 v5, v5, v14, s1
	v_cndmask_b32_e64 v15, v12, s7, s1
	ds_read2_b32 v[12:13], v7 offset0:96 offset1:112
	s_or_b32 s7, s4, 4
	s_waitcnt lgkmcnt(1)
	v_cmp_gt_f32_e64 s1, v3, v5
	v_cndmask_b32_e64 v3, v5, v3, s1
	v_cndmask_b32_e64 v14, v15, s7, s1
	s_or_b32 s7, s4, 5
	v_cmp_gt_f32_e64 s1, v4, v3
	v_cndmask_b32_e64 v5, v14, s7, s1
	v_cndmask_b32_e64 v14, v3, v4, s1
	ds_read2_b32 v[3:4], v7 offset0:128 offset1:144
	s_or_b32 s7, s4, 6
	s_waitcnt lgkmcnt(1)
	v_cmp_gt_f32_e64 s1, v12, v14
	v_cndmask_b32_e64 v12, v14, v12, s1
	v_cndmask_b32_e64 v5, v5, s7, s1
	s_or_b32 s7, s4, 7
	v_cmp_gt_f32_e64 s1, v13, v12
	v_cndmask_b32_e64 v14, v12, v13, s1
	v_cndmask_b32_e64 v5, v5, s7, s1
	ds_read2_b32 v[12:13], v7 offset0:160 offset1:176
	s_or_b32 s7, s4, 8
	s_waitcnt lgkmcnt(1)
	v_cmp_gt_f32_e64 s1, v3, v14
	v_cndmask_b32_e64 v3, v14, v3, s1
	v_cndmask_b32_e64 v5, v5, s7, s1
	s_or_b32 s7, s4, 9
	v_cmp_gt_f32_e64 s1, v4, v3
	v_cndmask_b32_e64 v14, v3, v4, s1
	v_cndmask_b32_e64 v5, v5, s7, s1
	ds_read2_b32 v[3:4], v7 offset0:192 offset1:208
	s_or_b32 s7, s4, 10
	s_waitcnt lgkmcnt(1)
	v_cmp_gt_f32_e64 s1, v12, v14
	v_cndmask_b32_e64 v12, v14, v12, s1
	v_cndmask_b32_e64 v5, v5, s7, s1
	s_or_b32 s7, s4, 11
	v_cmp_gt_f32_e64 s1, v13, v12
	v_cndmask_b32_e64 v14, v12, v13, s1
	v_cndmask_b32_e64 v5, v5, s7, s1
	ds_read2_b32 v[12:13], v7 offset0:224 offset1:240
	s_or_b32 s7, s4, 12
	s_waitcnt lgkmcnt(1)
	v_cmp_gt_f32_e64 s1, v3, v14
	v_cndmask_b32_e64 v3, v14, v3, s1
	v_cndmask_b32_e64 v5, v5, s7, s1
	s_or_b32 s7, s4, 13
	v_cmp_gt_f32_e64 s1, v4, v3
	v_cndmask_b32_e64 v3, v3, v4, s1
	v_cndmask_b32_e64 v5, v5, s7, s1
	s_or_b32 s7, s4, 14
	s_waitcnt lgkmcnt(0)
	v_cmp_gt_f32_e64 s1, v12, v3
	v_cndmask_b32_e64 v3, v3, v12, s1
	v_cndmask_b32_e64 v4, v5, s7, s1
	s_or_b32 s7, s4, 15
	v_cmp_gt_f32_e64 s1, v13, v3
	v_cndmask_b32_e64 v12, v4, s7, s1
	v_cndmask_b32_e64 v3, v3, v13, s1
.LBB3_11:                               ;   in Loop: Header=BB3_9 Depth=1
	s_or_b32 exec_lo, exec_lo, s5
	v_add_co_u32 v1, s1, 0x2000, v1
	v_add_co_ci_u32_e64 v2, null, 0, v2, s1
	s_add_i32 s1, s4, 16
	s_cmpk_gt_u32 s4, 0x3fef
	s_barrier
	buffer_gl0_inv
	s_cbranch_scc1 .LBB3_13
; %bb.12:                               ;   in Loop: Header=BB3_9 Depth=1
	s_mov_b32 s4, s1
	s_and_saveexec_b32 s5, vcc_lo
	s_cbranch_execnz .LBB3_7
	s_branch .LBB3_9
.LBB3_13:
	s_and_saveexec_b32 s1, s0
	s_cbranch_execz .LBB3_15
; %bb.14:
	v_add_nc_u32_e32 v0, s6, v0
	v_ashrrev_i32_e32 v1, 31, v0
	v_lshlrev_b64 v[0:1], 2, v[0:1]
	v_add_co_u32 v4, vcc_lo, s10, v0
	v_add_co_ci_u32_e64 v5, null, s11, v1, vcc_lo
	v_add_co_u32 v0, vcc_lo, s2, v0
	v_add_co_ci_u32_e64 v1, null, s3, v1, vcc_lo
	global_store_dword v[4:5], v3, off
	global_store_dword v[0:1], v12, off
.LBB3_15:
	s_endpgm
	.section	.rodata,"a",@progbits
	.p2align	6, 0x0
	.amdhsa_kernel _Z6Match4PKfS0_PfPi
		.amdhsa_group_segment_fixed_size 17664
		.amdhsa_private_segment_fixed_size 0
		.amdhsa_kernarg_size 32
		.amdhsa_user_sgpr_count 6
		.amdhsa_user_sgpr_private_segment_buffer 1
		.amdhsa_user_sgpr_dispatch_ptr 0
		.amdhsa_user_sgpr_queue_ptr 0
		.amdhsa_user_sgpr_kernarg_segment_ptr 1
		.amdhsa_user_sgpr_dispatch_id 0
		.amdhsa_user_sgpr_flat_scratch_init 0
		.amdhsa_user_sgpr_private_segment_size 0
		.amdhsa_wavefront_size32 1
		.amdhsa_uses_dynamic_stack 0
		.amdhsa_system_sgpr_private_segment_wavefront_offset 0
		.amdhsa_system_sgpr_workgroup_id_x 1
		.amdhsa_system_sgpr_workgroup_id_y 0
		.amdhsa_system_sgpr_workgroup_id_z 0
		.amdhsa_system_sgpr_workgroup_info 0
		.amdhsa_system_vgpr_workitem_id 1
		.amdhsa_next_free_vgpr 29
		.amdhsa_next_free_sgpr 12
		.amdhsa_reserve_vcc 1
		.amdhsa_reserve_flat_scratch 0
		.amdhsa_float_round_mode_32 0
		.amdhsa_float_round_mode_16_64 0
		.amdhsa_float_denorm_mode_32 3
		.amdhsa_float_denorm_mode_16_64 3
		.amdhsa_dx10_clamp 1
		.amdhsa_ieee_mode 1
		.amdhsa_fp16_overflow 0
		.amdhsa_workgroup_processor_mode 1
		.amdhsa_memory_ordered 1
		.amdhsa_forward_progress 1
		.amdhsa_shared_vgpr_count 0
		.amdhsa_exception_fp_ieee_invalid_op 0
		.amdhsa_exception_fp_denorm_src 0
		.amdhsa_exception_fp_ieee_div_zero 0
		.amdhsa_exception_fp_ieee_overflow 0
		.amdhsa_exception_fp_ieee_underflow 0
		.amdhsa_exception_fp_ieee_inexact 0
		.amdhsa_exception_int_div_zero 0
	.end_amdhsa_kernel
	.text
.Lfunc_end3:
	.size	_Z6Match4PKfS0_PfPi, .Lfunc_end3-_Z6Match4PKfS0_PfPi
                                        ; -- End function
	.set _Z6Match4PKfS0_PfPi.num_vgpr, 29
	.set _Z6Match4PKfS0_PfPi.num_agpr, 0
	.set _Z6Match4PKfS0_PfPi.numbered_sgpr, 12
	.set _Z6Match4PKfS0_PfPi.num_named_barrier, 0
	.set _Z6Match4PKfS0_PfPi.private_seg_size, 0
	.set _Z6Match4PKfS0_PfPi.uses_vcc, 1
	.set _Z6Match4PKfS0_PfPi.uses_flat_scratch, 0
	.set _Z6Match4PKfS0_PfPi.has_dyn_sized_stack, 0
	.set _Z6Match4PKfS0_PfPi.has_recursion, 0
	.set _Z6Match4PKfS0_PfPi.has_indirect_call, 0
	.section	.AMDGPU.csdata,"",@progbits
; Kernel info:
; codeLenInByte = 2348
; TotalNumSgprs: 14
; NumVgprs: 29
; ScratchSize: 0
; MemoryBound: 0
; FloatMode: 240
; IeeeMode: 1
; LDSByteSize: 17664 bytes/workgroup (compile time only)
; SGPRBlocks: 0
; VGPRBlocks: 3
; NumSGPRsForWavesPerEU: 14
; NumVGPRsForWavesPerEU: 29
; Occupancy: 16
; WaveLimiterHint : 0
; COMPUTE_PGM_RSRC2:SCRATCH_EN: 0
; COMPUTE_PGM_RSRC2:USER_SGPR: 6
; COMPUTE_PGM_RSRC2:TRAP_HANDLER: 0
; COMPUTE_PGM_RSRC2:TGID_X_EN: 1
; COMPUTE_PGM_RSRC2:TGID_Y_EN: 0
; COMPUTE_PGM_RSRC2:TGID_Z_EN: 0
; COMPUTE_PGM_RSRC2:TIDIG_COMP_CNT: 1
	.text
	.protected	_Z6Match5PKfS0_PfPi     ; -- Begin function _Z6Match5PKfS0_PfPi
	.globl	_Z6Match5PKfS0_PfPi
	.p2align	8
	.type	_Z6Match5PKfS0_PfPi,@function
_Z6Match5PKfS0_PfPi:                    ; @_Z6Match5PKfS0_PfPi
; %bb.0:
	v_cmp_lt_u32_e64 s0, 15, v1
	v_cmp_lt_u32_e64 s1, 31, v0
	v_lshlrev_b32_e32 v2, 4, v0
	v_cmp_gt_u32_e32 vcc_lo, 32, v0
	s_or_b32 s0, s0, s1
	s_and_saveexec_b32 s1, s0
	s_xor_b32 s0, exec_lo, s1
; %bb.1:
	v_lshlrev_b32_e32 v2, 4, v0
; %bb.2:
	s_or_saveexec_b32 s1, s0
	s_clause 0x1
	s_load_dwordx4 s[8:11], s[4:5], 0x8
	s_load_dwordx2 s[12:13], s[4:5], 0x18
	s_lshl_b32 s6, s6, 4
	s_xor_b32 exec_lo, exec_lo, s1
	s_cbranch_execz .LBB4_6
; %bb.3:
	s_load_dwordx2 s[2:3], s[4:5], 0x0
	v_or_b32_e32 v3, s6, v1
	v_mad_u32_u24 v4, 0x210, v1, v2
	v_mov_b32_e32 v5, v0
	s_mov_b32 s4, 0
	v_lshlrev_b32_e32 v3, 5, v3
	.p2align	6
.LBB4_4:                                ; =>This Inner Loop Header: Depth=1
	v_add_nc_u32_e32 v6, v3, v5
	v_add_nc_u32_e32 v10, 16, v5
	v_ashrrev_i32_e32 v7, 31, v6
	v_lshlrev_b64 v[6:7], 4, v[6:7]
	s_waitcnt lgkmcnt(0)
	v_add_co_u32 v6, s0, s2, v6
	v_add_co_ci_u32_e64 v7, null, s3, v7, s0
	v_cmp_lt_u32_e64 s0, 15, v5
	v_mov_b32_e32 v5, v10
	global_load_dwordx4 v[6:9], v[6:7], off
	s_or_b32 s4, s0, s4
	s_waitcnt vmcnt(0)
	ds_write_b128 v4, v[6:9]
	v_add_nc_u32_e32 v4, 0x100, v4
	s_andn2_b32 exec_lo, exec_lo, s4
	s_cbranch_execnz .LBB4_4
; %bb.5:
	s_or_b32 exec_lo, exec_lo, s4
.LBB4_6:
	s_or_b32 exec_lo, exec_lo, s1
	v_lshl_add_u32 v3, v1, 5, v0
	v_mov_b32_e32 v4, 0
	v_lshlrev_b32_e32 v10, 9, v1
	v_lshl_add_u32 v8, v0, 2, 0x4100
	v_lshlrev_b32_e32 v11, 8, v1
	v_cmp_gt_u32_e64 s1, 4, v1
	v_lshlrev_b64 v[5:6], 4, v[3:4]
	v_add3_u32 v10, v10, v2, 0x2100
	v_cmp_eq_u32_e64 s0, 0, v1
	v_mul_u32_u24_e32 v7, 0x210, v0
	v_add_nc_u32_e32 v9, -16, v0
	v_lshl_add_u32 v1, v1, 11, 0x2100
	s_waitcnt lgkmcnt(0)
	v_add_co_u32 v2, s2, s8, v5
	v_add_co_ci_u32_e64 v3, null, s9, v6, s2
	v_mov_b32_e32 v12, -1
	v_add_nc_u32_e32 v11, v8, v11
	s_mov_b32 s3, 0
	s_barrier
	buffer_gl0_inv
	s_and_saveexec_b32 s4, vcc_lo
	s_cbranch_execz .LBB4_9
.LBB4_7:
	v_mov_b32_e32 v6, v3
	v_mov_b32_e32 v5, v2
	;; [unrolled: 1-line block ×4, first 2 shown]
	s_mov_b32 s5, 0
	.p2align	6
.LBB4_8:                                ; =>This Inner Loop Header: Depth=1
	global_load_dwordx4 v[15:18], v[5:6], off
	v_add_co_u32 v14, s7, v14, 16
	v_add_co_u32 v5, s2, 0x100, v5
	v_add_co_ci_u32_e64 v6, null, 0, v6, s2
	s_xor_b32 s2, s7, -1
	s_and_b32 s2, exec_lo, s2
	s_or_b32 s5, s2, s5
	s_waitcnt vmcnt(0)
	ds_write_b128 v13, v[15:18]
	v_add_nc_u32_e32 v13, 0x100, v13
	s_andn2_b32 exec_lo, exec_lo, s5
	s_cbranch_execnz .LBB4_8
.LBB4_9:                                ; =>This Loop Header: Depth=1
                                        ;     Child Loop BB4_11 Depth 2
	s_or_b32 exec_lo, exec_lo, s4
	s_waitcnt lgkmcnt(0)
	s_barrier
	buffer_gl0_inv
	s_and_saveexec_b32 s2, s1
	s_cbranch_execz .LBB4_13
; %bb.10:                               ;   in Loop: Header=BB4_9 Depth=1
	v_mov_b32_e32 v5, 0
	v_mov_b32_e32 v6, 0
	;; [unrolled: 1-line block ×4, first 2 shown]
	s_mov_b32 s4, 0
.LBB4_11:                               ;   Parent Loop BB4_9 Depth=1
                                        ; =>  This Inner Loop Header: Depth=2
	v_add_nc_u32_e32 v35, s4, v7
	v_add_nc_u32_e32 v51, s4, v1
	s_add_i32 s4, s4, 32
	ds_read_b128 v[15:18], v35
	ds_read_b128 v[19:22], v51
	ds_read_b128 v[23:26], v51 offset:512
	ds_read_b128 v[27:30], v51 offset:1024
	;; [unrolled: 1-line block ×8, first 2 shown]
	s_cmpk_eq_i32 s4, 0x200
	s_waitcnt lgkmcnt(8)
	v_fmac_f32_e32 v5, v15, v19
	s_waitcnt lgkmcnt(7)
	v_fmac_f32_e32 v6, v15, v23
	;; [unrolled: 2-line block ×4, first 2 shown]
	v_fmac_f32_e32 v5, v16, v20
	v_fmac_f32_e32 v6, v16, v24
	;; [unrolled: 1-line block ×12, first 2 shown]
	s_waitcnt lgkmcnt(3)
	v_fmac_f32_e32 v5, v35, v39
	s_waitcnt lgkmcnt(2)
	v_fmac_f32_e32 v6, v35, v43
	s_waitcnt lgkmcnt(1)
	v_fmac_f32_e32 v13, v35, v47
	s_waitcnt lgkmcnt(0)
	v_fmac_f32_e32 v14, v35, v51
	v_fmac_f32_e32 v5, v36, v40
	v_fmac_f32_e32 v6, v36, v44
	;; [unrolled: 1-line block ×12, first 2 shown]
	s_cbranch_scc0 .LBB4_11
; %bb.12:                               ;   in Loop: Header=BB4_9 Depth=1
	ds_write2_b32 v11, v5, v6 offset1:16
	ds_write2_b32 v11, v13, v14 offset0:32 offset1:48
.LBB4_13:                               ;   in Loop: Header=BB4_9 Depth=1
	s_or_b32 exec_lo, exec_lo, s2
	s_waitcnt lgkmcnt(0)
	s_barrier
	buffer_gl0_inv
	s_and_saveexec_b32 s4, s0
	s_cbranch_execz .LBB4_15
; %bb.14:                               ;   in Loop: Header=BB4_9 Depth=1
	ds_read2_b32 v[5:6], v8 offset1:16
	ds_read2_b32 v[13:14], v8 offset0:32 offset1:48
	s_or_b32 s5, s3, 1
	s_waitcnt lgkmcnt(1)
	v_cmp_gt_f32_e64 s2, v5, v4
	v_cndmask_b32_e64 v4, v4, v5, s2
	v_cndmask_b32_e64 v12, v12, s3, s2
	v_cmp_gt_f32_e64 s2, v6, v4
	v_cndmask_b32_e64 v6, v4, v6, s2
	v_cndmask_b32_e64 v12, v12, s5, s2
	ds_read2_b32 v[4:5], v8 offset0:64 offset1:80
	s_or_b32 s5, s3, 2
	s_waitcnt lgkmcnt(1)
	v_cmp_gt_f32_e64 s2, v13, v6
	v_cndmask_b32_e64 v6, v6, v13, s2
	v_cndmask_b32_e64 v12, v12, s5, s2
	s_or_b32 s5, s3, 3
	v_cmp_gt_f32_e64 s2, v14, v6
	v_cndmask_b32_e64 v6, v6, v14, s2
	v_cndmask_b32_e64 v15, v12, s5, s2
	ds_read2_b32 v[12:13], v8 offset0:96 offset1:112
	s_or_b32 s5, s3, 4
	s_waitcnt lgkmcnt(1)
	v_cmp_gt_f32_e64 s2, v4, v6
	v_cndmask_b32_e64 v4, v6, v4, s2
	v_cndmask_b32_e64 v14, v15, s5, s2
	s_or_b32 s5, s3, 5
	v_cmp_gt_f32_e64 s2, v5, v4
	v_cndmask_b32_e64 v6, v14, s5, s2
	v_cndmask_b32_e64 v14, v4, v5, s2
	ds_read2_b32 v[4:5], v8 offset0:128 offset1:144
	s_or_b32 s5, s3, 6
	s_waitcnt lgkmcnt(1)
	v_cmp_gt_f32_e64 s2, v12, v14
	v_cndmask_b32_e64 v12, v14, v12, s2
	v_cndmask_b32_e64 v6, v6, s5, s2
	s_or_b32 s5, s3, 7
	v_cmp_gt_f32_e64 s2, v13, v12
	v_cndmask_b32_e64 v14, v12, v13, s2
	v_cndmask_b32_e64 v6, v6, s5, s2
	ds_read2_b32 v[12:13], v8 offset0:160 offset1:176
	s_or_b32 s5, s3, 8
	s_waitcnt lgkmcnt(1)
	v_cmp_gt_f32_e64 s2, v4, v14
	v_cndmask_b32_e64 v4, v14, v4, s2
	v_cndmask_b32_e64 v6, v6, s5, s2
	s_or_b32 s5, s3, 9
	v_cmp_gt_f32_e64 s2, v5, v4
	v_cndmask_b32_e64 v14, v4, v5, s2
	v_cndmask_b32_e64 v6, v6, s5, s2
	ds_read2_b32 v[4:5], v8 offset0:192 offset1:208
	s_or_b32 s5, s3, 10
	s_waitcnt lgkmcnt(1)
	v_cmp_gt_f32_e64 s2, v12, v14
	v_cndmask_b32_e64 v12, v14, v12, s2
	v_cndmask_b32_e64 v6, v6, s5, s2
	s_or_b32 s5, s3, 11
	v_cmp_gt_f32_e64 s2, v13, v12
	v_cndmask_b32_e64 v14, v12, v13, s2
	v_cndmask_b32_e64 v6, v6, s5, s2
	ds_read2_b32 v[12:13], v8 offset0:224 offset1:240
	s_or_b32 s5, s3, 12
	s_waitcnt lgkmcnt(1)
	v_cmp_gt_f32_e64 s2, v4, v14
	v_cndmask_b32_e64 v4, v14, v4, s2
	v_cndmask_b32_e64 v6, v6, s5, s2
	s_or_b32 s5, s3, 13
	v_cmp_gt_f32_e64 s2, v5, v4
	v_cndmask_b32_e64 v4, v4, v5, s2
	v_cndmask_b32_e64 v6, v6, s5, s2
	s_or_b32 s5, s3, 14
	s_waitcnt lgkmcnt(0)
	v_cmp_gt_f32_e64 s2, v12, v4
	v_cndmask_b32_e64 v4, v4, v12, s2
	v_cndmask_b32_e64 v5, v6, s5, s2
	s_or_b32 s5, s3, 15
	v_cmp_gt_f32_e64 s2, v13, v4
	v_cndmask_b32_e64 v12, v5, s5, s2
	v_cndmask_b32_e64 v4, v4, v13, s2
.LBB4_15:                               ;   in Loop: Header=BB4_9 Depth=1
	s_or_b32 exec_lo, exec_lo, s4
	v_add_co_u32 v2, s2, 0x2000, v2
	v_add_co_ci_u32_e64 v3, null, 0, v3, s2
	s_add_i32 s2, s3, 16
	s_cmpk_gt_u32 s3, 0x3fef
	s_barrier
	buffer_gl0_inv
	s_cbranch_scc1 .LBB4_17
; %bb.16:                               ;   in Loop: Header=BB4_9 Depth=1
	s_mov_b32 s3, s2
	s_and_saveexec_b32 s4, vcc_lo
	s_cbranch_execnz .LBB4_7
	s_branch .LBB4_9
.LBB4_17:
	s_and_saveexec_b32 s1, s0
	s_cbranch_execz .LBB4_19
; %bb.18:
	v_add_nc_u32_e32 v0, s6, v0
	v_ashrrev_i32_e32 v1, 31, v0
	v_lshlrev_b64 v[0:1], 2, v[0:1]
	v_add_co_u32 v2, vcc_lo, s10, v0
	v_add_co_ci_u32_e64 v3, null, s11, v1, vcc_lo
	v_add_co_u32 v0, vcc_lo, s12, v0
	v_add_co_ci_u32_e64 v1, null, s13, v1, vcc_lo
	global_store_dword v[2:3], v4, off
	global_store_dword v[0:1], v12, off
.LBB4_19:
	s_endpgm
	.section	.rodata,"a",@progbits
	.p2align	6, 0x0
	.amdhsa_kernel _Z6Match5PKfS0_PfPi
		.amdhsa_group_segment_fixed_size 17664
		.amdhsa_private_segment_fixed_size 0
		.amdhsa_kernarg_size 32
		.amdhsa_user_sgpr_count 6
		.amdhsa_user_sgpr_private_segment_buffer 1
		.amdhsa_user_sgpr_dispatch_ptr 0
		.amdhsa_user_sgpr_queue_ptr 0
		.amdhsa_user_sgpr_kernarg_segment_ptr 1
		.amdhsa_user_sgpr_dispatch_id 0
		.amdhsa_user_sgpr_flat_scratch_init 0
		.amdhsa_user_sgpr_private_segment_size 0
		.amdhsa_wavefront_size32 1
		.amdhsa_uses_dynamic_stack 0
		.amdhsa_system_sgpr_private_segment_wavefront_offset 0
		.amdhsa_system_sgpr_workgroup_id_x 1
		.amdhsa_system_sgpr_workgroup_id_y 0
		.amdhsa_system_sgpr_workgroup_id_z 0
		.amdhsa_system_sgpr_workgroup_info 0
		.amdhsa_system_vgpr_workitem_id 1
		.amdhsa_next_free_vgpr 55
		.amdhsa_next_free_sgpr 14
		.amdhsa_reserve_vcc 1
		.amdhsa_reserve_flat_scratch 0
		.amdhsa_float_round_mode_32 0
		.amdhsa_float_round_mode_16_64 0
		.amdhsa_float_denorm_mode_32 3
		.amdhsa_float_denorm_mode_16_64 3
		.amdhsa_dx10_clamp 1
		.amdhsa_ieee_mode 1
		.amdhsa_fp16_overflow 0
		.amdhsa_workgroup_processor_mode 1
		.amdhsa_memory_ordered 1
		.amdhsa_forward_progress 1
		.amdhsa_shared_vgpr_count 0
		.amdhsa_exception_fp_ieee_invalid_op 0
		.amdhsa_exception_fp_denorm_src 0
		.amdhsa_exception_fp_ieee_div_zero 0
		.amdhsa_exception_fp_ieee_overflow 0
		.amdhsa_exception_fp_ieee_underflow 0
		.amdhsa_exception_fp_ieee_inexact 0
		.amdhsa_exception_int_div_zero 0
	.end_amdhsa_kernel
	.text
.Lfunc_end4:
	.size	_Z6Match5PKfS0_PfPi, .Lfunc_end4-_Z6Match5PKfS0_PfPi
                                        ; -- End function
	.set _Z6Match5PKfS0_PfPi.num_vgpr, 55
	.set _Z6Match5PKfS0_PfPi.num_agpr, 0
	.set _Z6Match5PKfS0_PfPi.numbered_sgpr, 14
	.set _Z6Match5PKfS0_PfPi.num_named_barrier, 0
	.set _Z6Match5PKfS0_PfPi.private_seg_size, 0
	.set _Z6Match5PKfS0_PfPi.uses_vcc, 1
	.set _Z6Match5PKfS0_PfPi.uses_flat_scratch, 0
	.set _Z6Match5PKfS0_PfPi.has_dyn_sized_stack, 0
	.set _Z6Match5PKfS0_PfPi.has_recursion, 0
	.set _Z6Match5PKfS0_PfPi.has_indirect_call, 0
	.section	.AMDGPU.csdata,"",@progbits
; Kernel info:
; codeLenInByte = 1556
; TotalNumSgprs: 16
; NumVgprs: 55
; ScratchSize: 0
; MemoryBound: 0
; FloatMode: 240
; IeeeMode: 1
; LDSByteSize: 17664 bytes/workgroup (compile time only)
; SGPRBlocks: 0
; VGPRBlocks: 6
; NumSGPRsForWavesPerEU: 16
; NumVGPRsForWavesPerEU: 55
; Occupancy: 16
; WaveLimiterHint : 0
; COMPUTE_PGM_RSRC2:SCRATCH_EN: 0
; COMPUTE_PGM_RSRC2:USER_SGPR: 6
; COMPUTE_PGM_RSRC2:TRAP_HANDLER: 0
; COMPUTE_PGM_RSRC2:TGID_X_EN: 1
; COMPUTE_PGM_RSRC2:TGID_Y_EN: 0
; COMPUTE_PGM_RSRC2:TGID_Z_EN: 0
; COMPUTE_PGM_RSRC2:TIDIG_COMP_CNT: 1
	.text
	.protected	_Z6Match6PKfS0_PfPi     ; -- Begin function _Z6Match6PKfS0_PfPi
	.globl	_Z6Match6PKfS0_PfPi
	.p2align	8
	.type	_Z6Match6PKfS0_PfPi,@function
_Z6Match6PKfS0_PfPi:                    ; @_Z6Match6PKfS0_PfPi
; %bb.0:
	v_cmp_lt_u32_e64 s0, 15, v1
	v_cmp_lt_u32_e64 s1, 31, v0
	v_lshlrev_b32_e32 v4, 4, v0
	v_cmp_gt_u32_e32 vcc_lo, 32, v0
	s_or_b32 s0, s0, s1
	s_and_saveexec_b32 s1, s0
	s_xor_b32 s0, exec_lo, s1
; %bb.1:
	v_lshlrev_b32_e32 v4, 4, v0
; %bb.2:
	s_or_saveexec_b32 s1, s0
	s_clause 0x1
	s_load_dwordx4 s[8:11], s[4:5], 0x8
	s_load_dwordx2 s[2:3], s[4:5], 0x18
	s_lshl_b32 s6, s6, 4
	s_xor_b32 exec_lo, exec_lo, s1
	s_cbranch_execz .LBB5_6
; %bb.3:
	s_load_dwordx2 s[4:5], s[4:5], 0x0
	v_or_b32_e32 v2, s6, v1
	v_mad_u32_u24 v3, 0x210, v1, v4
	v_mov_b32_e32 v5, v0
	s_mov_b32 s7, 0
	v_lshlrev_b32_e32 v2, 5, v2
	.p2align	6
.LBB5_4:                                ; =>This Inner Loop Header: Depth=1
	v_add_nc_u32_e32 v6, v2, v5
	v_add_nc_u32_e32 v10, 16, v5
	v_ashrrev_i32_e32 v7, 31, v6
	v_lshlrev_b64 v[6:7], 4, v[6:7]
	s_waitcnt lgkmcnt(0)
	v_add_co_u32 v6, s0, s4, v6
	v_add_co_ci_u32_e64 v7, null, s5, v7, s0
	v_cmp_lt_u32_e64 s0, 15, v5
	v_mov_b32_e32 v5, v10
	global_load_dwordx4 v[6:9], v[6:7], off
	s_or_b32 s7, s0, s7
	s_waitcnt vmcnt(0)
	ds_write_b128 v3, v[6:9]
	v_add_nc_u32_e32 v3, 0x100, v3
	s_andn2_b32 exec_lo, exec_lo, s7
	s_cbranch_execnz .LBB5_4
; %bb.5:
	s_or_b32 exec_lo, exec_lo, s7
.LBB5_6:
	s_or_b32 exec_lo, exec_lo, s1
	v_lshl_add_u32 v2, v1, 5, v0
	v_mov_b32_e32 v3, 0
	v_lshlrev_b32_e32 v7, 9, v1
	v_cmp_gt_u32_e64 s0, 4, v1
	v_lshlrev_b32_e32 v8, 2, v1
	v_add_nc_u32_e32 v9, -16, v0
	v_lshlrev_b64 v[5:6], 4, v[2:3]
	v_add3_u32 v10, v7, v4, 0x2100
	v_mul_u32_u24_e32 v2, 0x210, v0
	v_lshl_add_u32 v11, v1, 11, 0x2100
	v_mov_b32_e32 v12, -1
	s_mov_b32 s4, 0
	s_waitcnt lgkmcnt(0)
	v_add_co_u32 v4, s1, s8, v5
	v_add_co_ci_u32_e64 v5, null, s9, v6, s1
	s_and_saveexec_b32 s5, vcc_lo
	s_cbranch_execz .LBB5_9
.LBB5_7:
	v_mov_b32_e32 v7, v5
	v_mov_b32_e32 v6, v4
	;; [unrolled: 1-line block ×4, first 2 shown]
	s_mov_b32 s7, 0
	.p2align	6
.LBB5_8:                                ; =>This Inner Loop Header: Depth=1
	global_load_dwordx4 v[15:18], v[6:7], off
	v_add_co_u32 v14, s8, v14, 16
	v_add_co_u32 v6, s1, 0x100, v6
	v_add_co_ci_u32_e64 v7, null, 0, v7, s1
	s_xor_b32 s1, s8, -1
	s_and_b32 s1, exec_lo, s1
	s_or_b32 s7, s1, s7
	s_waitcnt vmcnt(0)
	ds_write_b128 v13, v[15:18]
	v_add_nc_u32_e32 v13, 0x100, v13
	s_andn2_b32 exec_lo, exec_lo, s7
	s_cbranch_execnz .LBB5_8
.LBB5_9:                                ; =>This Loop Header: Depth=1
                                        ;     Child Loop BB5_11 Depth 2
	s_or_b32 exec_lo, exec_lo, s5
	s_waitcnt lgkmcnt(0)
	s_barrier
	buffer_gl0_inv
	s_and_saveexec_b32 s5, s0
	s_cbranch_execz .LBB5_13
; %bb.10:                               ;   in Loop: Header=BB5_9 Depth=1
	v_mov_b32_e32 v14, 0
	v_mov_b32_e32 v13, 0
	;; [unrolled: 1-line block ×4, first 2 shown]
	s_mov_b32 s1, 0
.LBB5_11:                               ;   Parent Loop BB5_9 Depth=1
                                        ; =>  This Inner Loop Header: Depth=2
	v_add_nc_u32_e32 v35, s1, v2
	v_add_nc_u32_e32 v51, s1, v11
	s_add_i32 s1, s1, 32
	ds_read_b128 v[15:18], v35
	ds_read_b128 v[19:22], v51
	ds_read_b128 v[23:26], v51 offset:512
	ds_read_b128 v[27:30], v51 offset:1024
	;; [unrolled: 1-line block ×8, first 2 shown]
	s_cmpk_eq_i32 s1, 0x200
	s_waitcnt lgkmcnt(8)
	v_fmac_f32_e32 v14, v15, v19
	s_waitcnt lgkmcnt(7)
	v_fmac_f32_e32 v13, v15, v23
	;; [unrolled: 2-line block ×4, first 2 shown]
	v_fmac_f32_e32 v14, v16, v20
	v_fmac_f32_e32 v13, v16, v24
	;; [unrolled: 1-line block ×12, first 2 shown]
	s_waitcnt lgkmcnt(3)
	v_fmac_f32_e32 v14, v35, v39
	s_waitcnt lgkmcnt(2)
	v_fmac_f32_e32 v13, v35, v43
	;; [unrolled: 2-line block ×4, first 2 shown]
	v_fmac_f32_e32 v14, v36, v40
	v_fmac_f32_e32 v13, v36, v44
	;; [unrolled: 1-line block ×12, first 2 shown]
	s_cbranch_scc0 .LBB5_11
; %bb.12:                               ;   in Loop: Header=BB5_9 Depth=1
	v_cmp_gt_f32_e64 s1, v14, v3
	v_or_b32_e32 v15, s4, v8
	v_cndmask_b32_e64 v3, v3, v14, s1
	v_cndmask_b32_e64 v12, v12, v15, s1
	v_or_b32_e32 v14, 1, v15
	v_cmp_gt_f32_e64 s1, v13, v3
	v_cndmask_b32_e64 v3, v3, v13, s1
	v_cndmask_b32_e64 v12, v12, v14, s1
	v_or_b32_e32 v13, 2, v15
	v_cmp_gt_f32_e64 s1, v7, v3
	v_cndmask_b32_e64 v3, v3, v7, s1
	v_cndmask_b32_e64 v12, v12, v13, s1
	v_or_b32_e32 v7, 3, v15
	v_cmp_gt_f32_e64 s1, v6, v3
	v_cndmask_b32_e64 v12, v12, v7, s1
	v_cndmask_b32_e64 v3, v3, v6, s1
.LBB5_13:                               ;   in Loop: Header=BB5_9 Depth=1
	s_or_b32 exec_lo, exec_lo, s5
	v_add_co_u32 v4, s1, 0x2000, v4
	v_add_co_ci_u32_e64 v5, null, 0, v5, s1
	s_add_i32 s1, s4, 16
	s_cmpk_gt_u32 s4, 0x3fef
	s_barrier
	buffer_gl0_inv
	s_cbranch_scc1 .LBB5_15
; %bb.14:                               ;   in Loop: Header=BB5_9 Depth=1
	s_mov_b32 s4, s1
	s_and_saveexec_b32 s5, vcc_lo
	s_cbranch_execnz .LBB5_7
	s_branch .LBB5_9
.LBB5_15:
	s_and_saveexec_b32 s1, s0
; %bb.16:
	v_lshlrev_b32_e32 v2, 4, v1
	v_add_lshl_u32 v2, v2, v0, 2
	ds_write2st64_b32 v2, v3, v12 offset1:1
; %bb.17:
	s_or_b32 exec_lo, exec_lo, s1
	s_waitcnt lgkmcnt(0)
	s_barrier
	buffer_gl0_inv
	s_mov_b32 s0, exec_lo
	v_cmpx_eq_u32_e32 0, v1
	s_cbranch_execz .LBB5_19
; %bb.18:
	v_lshlrev_b32_e32 v3, 2, v0
	v_add_nc_u32_e32 v5, 16, v0
	ds_read2_b32 v[1:2], v3 offset1:16
	ds_read2_b32 v[3:4], v3 offset0:32 offset1:48
	s_waitcnt lgkmcnt(1)
	v_cmp_gt_f32_e32 vcc_lo, v2, v1
	v_cndmask_b32_e32 v1, v1, v2, vcc_lo
	v_cndmask_b32_e32 v5, v0, v5, vcc_lo
	v_add_nc_u32_e32 v2, 32, v0
	s_waitcnt lgkmcnt(0)
	v_cmp_gt_f32_e32 vcc_lo, v3, v1
	v_cndmask_b32_e32 v3, v1, v3, vcc_lo
	v_cndmask_b32_e32 v2, v5, v2, vcc_lo
	v_add_nc_u32_e32 v1, 48, v0
	v_add_nc_u32_e32 v0, s6, v0
	v_cmp_gt_f32_e32 vcc_lo, v4, v3
	v_cndmask_b32_e32 v1, v2, v1, vcc_lo
	v_cndmask_b32_e32 v4, v3, v4, vcc_lo
	v_lshlrev_b32_e32 v2, 2, v1
	v_ashrrev_i32_e32 v1, 31, v0
	ds_read_b32 v5, v2 offset:256
	v_lshlrev_b64 v[0:1], 2, v[0:1]
	v_add_co_u32 v2, vcc_lo, s10, v0
	v_add_co_ci_u32_e64 v3, null, s11, v1, vcc_lo
	v_add_co_u32 v0, vcc_lo, s2, v0
	v_add_co_ci_u32_e64 v1, null, s3, v1, vcc_lo
	global_store_dword v[2:3], v4, off
	s_waitcnt lgkmcnt(0)
	global_store_dword v[0:1], v5, off
.LBB5_19:
	s_endpgm
	.section	.rodata,"a",@progbits
	.p2align	6, 0x0
	.amdhsa_kernel _Z6Match6PKfS0_PfPi
		.amdhsa_group_segment_fixed_size 16640
		.amdhsa_private_segment_fixed_size 0
		.amdhsa_kernarg_size 32
		.amdhsa_user_sgpr_count 6
		.amdhsa_user_sgpr_private_segment_buffer 1
		.amdhsa_user_sgpr_dispatch_ptr 0
		.amdhsa_user_sgpr_queue_ptr 0
		.amdhsa_user_sgpr_kernarg_segment_ptr 1
		.amdhsa_user_sgpr_dispatch_id 0
		.amdhsa_user_sgpr_flat_scratch_init 0
		.amdhsa_user_sgpr_private_segment_size 0
		.amdhsa_wavefront_size32 1
		.amdhsa_uses_dynamic_stack 0
		.amdhsa_system_sgpr_private_segment_wavefront_offset 0
		.amdhsa_system_sgpr_workgroup_id_x 1
		.amdhsa_system_sgpr_workgroup_id_y 0
		.amdhsa_system_sgpr_workgroup_id_z 0
		.amdhsa_system_sgpr_workgroup_info 0
		.amdhsa_system_vgpr_workitem_id 1
		.amdhsa_next_free_vgpr 55
		.amdhsa_next_free_sgpr 12
		.amdhsa_reserve_vcc 1
		.amdhsa_reserve_flat_scratch 0
		.amdhsa_float_round_mode_32 0
		.amdhsa_float_round_mode_16_64 0
		.amdhsa_float_denorm_mode_32 3
		.amdhsa_float_denorm_mode_16_64 3
		.amdhsa_dx10_clamp 1
		.amdhsa_ieee_mode 1
		.amdhsa_fp16_overflow 0
		.amdhsa_workgroup_processor_mode 1
		.amdhsa_memory_ordered 1
		.amdhsa_forward_progress 1
		.amdhsa_shared_vgpr_count 0
		.amdhsa_exception_fp_ieee_invalid_op 0
		.amdhsa_exception_fp_denorm_src 0
		.amdhsa_exception_fp_ieee_div_zero 0
		.amdhsa_exception_fp_ieee_overflow 0
		.amdhsa_exception_fp_ieee_underflow 0
		.amdhsa_exception_fp_ieee_inexact 0
		.amdhsa_exception_int_div_zero 0
	.end_amdhsa_kernel
	.text
.Lfunc_end5:
	.size	_Z6Match6PKfS0_PfPi, .Lfunc_end5-_Z6Match6PKfS0_PfPi
                                        ; -- End function
	.set _Z6Match6PKfS0_PfPi.num_vgpr, 55
	.set _Z6Match6PKfS0_PfPi.num_agpr, 0
	.set _Z6Match6PKfS0_PfPi.numbered_sgpr, 12
	.set _Z6Match6PKfS0_PfPi.num_named_barrier, 0
	.set _Z6Match6PKfS0_PfPi.private_seg_size, 0
	.set _Z6Match6PKfS0_PfPi.uses_vcc, 1
	.set _Z6Match6PKfS0_PfPi.uses_flat_scratch, 0
	.set _Z6Match6PKfS0_PfPi.has_dyn_sized_stack, 0
	.set _Z6Match6PKfS0_PfPi.has_recursion, 0
	.set _Z6Match6PKfS0_PfPi.has_indirect_call, 0
	.section	.AMDGPU.csdata,"",@progbits
; Kernel info:
; codeLenInByte = 1160
; TotalNumSgprs: 14
; NumVgprs: 55
; ScratchSize: 0
; MemoryBound: 0
; FloatMode: 240
; IeeeMode: 1
; LDSByteSize: 16640 bytes/workgroup (compile time only)
; SGPRBlocks: 0
; VGPRBlocks: 6
; NumSGPRsForWavesPerEU: 14
; NumVGPRsForWavesPerEU: 55
; Occupancy: 16
; WaveLimiterHint : 0
; COMPUTE_PGM_RSRC2:SCRATCH_EN: 0
; COMPUTE_PGM_RSRC2:USER_SGPR: 6
; COMPUTE_PGM_RSRC2:TRAP_HANDLER: 0
; COMPUTE_PGM_RSRC2:TGID_X_EN: 1
; COMPUTE_PGM_RSRC2:TGID_Y_EN: 0
; COMPUTE_PGM_RSRC2:TGID_Z_EN: 0
; COMPUTE_PGM_RSRC2:TIDIG_COMP_CNT: 1
	.text
	.protected	_Z6Match7PKfS0_PfPi     ; -- Begin function _Z6Match7PKfS0_PfPi
	.globl	_Z6Match7PKfS0_PfPi
	.p2align	8
	.type	_Z6Match7PKfS0_PfPi,@function
_Z6Match7PKfS0_PfPi:                    ; @_Z6Match7PKfS0_PfPi
; %bb.0:
	v_or_b32_e32 v2, v0, v1
	v_lshlrev_b32_e32 v4, 9, v1
	v_cmp_gt_u32_e32 vcc_lo, 32, v2
	v_cmp_lt_u32_e64 s0, 31, v2
	v_lshlrev_b32_e32 v2, 5, v1
	s_and_saveexec_b32 s1, s0
	s_xor_b32 s0, exec_lo, s1
; %bb.1:
	v_lshlrev_b32_e32 v4, 9, v1
	v_lshlrev_b32_e32 v2, 5, v1
; %bb.2:
	s_or_saveexec_b32 s1, s0
	s_clause 0x1
	s_load_dwordx4 s[8:11], s[4:5], 0x8
	s_load_dwordx2 s[2:3], s[4:5], 0x18
	s_xor_b32 exec_lo, exec_lo, s1
	s_cbranch_execz .LBB6_6
; %bb.3:
	s_load_dwordx2 s[4:5], s[4:5], 0x0
	v_add_nc_u32_e32 v3, v1, v0
	v_lshl_add_u32 v5, s6, 10, v2
	v_mov_b32_e32 v6, v4
	v_mov_b32_e32 v7, v1
	s_mov_b32 s7, 0
	.p2align	6
.LBB6_4:                                ; =>This Inner Loop Header: Depth=1
	v_add_nc_u32_e32 v8, v0, v5
	v_and_b32_e32 v12, 31, v3
	v_add_nc_u32_e32 v13, 8, v7
	v_add_nc_u16 v3, v3, 8
	v_add_nc_u32_e32 v5, 0x100, v5
	v_ashrrev_i32_e32 v9, 31, v8
	v_lshl_add_u32 v12, v12, 4, v6
	v_add_nc_u32_e32 v6, 0x1000, v6
	v_lshlrev_b64 v[8:9], 4, v[8:9]
	s_waitcnt lgkmcnt(0)
	v_add_co_u32 v8, s0, s4, v8
	v_add_co_ci_u32_e64 v9, null, s5, v9, s0
	v_cmp_lt_u32_e64 s0, 23, v7
	v_mov_b32_e32 v7, v13
	global_load_dwordx4 v[8:11], v[8:9], off
	s_or_b32 s7, s0, s7
	s_waitcnt vmcnt(0)
	ds_write_b128 v12, v[8:11]
	s_andn2_b32 exec_lo, exec_lo, s7
	s_cbranch_execnz .LBB6_4
; %bb.5:
	s_or_b32 exec_lo, exec_lo, s7
.LBB6_6:
	s_or_b32 exec_lo, exec_lo, s1
	v_add_nc_u32_e32 v2, v0, v2
	v_mov_b32_e32 v3, 0
	v_lshlrev_b32_e32 v7, 4, v0
	v_lshlrev_b32_e32 v8, 9, v0
	;; [unrolled: 1-line block ×3, first 2 shown]
	v_add_nc_u32_e32 v10, -8, v1
	v_lshlrev_b64 v[5:6], 4, v[2:3]
	v_add3_u32 v11, v4, v7, 0x4000
	v_lshl_add_u32 v12, v1, 11, 0x4000
	v_mov_b32_e32 v13, -1
	s_mov_b32 s4, 0
	s_waitcnt lgkmcnt(0)
	v_add_co_u32 v4, s0, s8, v5
	v_add_co_ci_u32_e64 v5, null, s9, v6, s0
	s_and_saveexec_b32 s5, vcc_lo
	s_cbranch_execz .LBB6_9
.LBB6_7:
	v_mov_b32_e32 v7, v5
	v_mov_b32_e32 v6, v4
	;; [unrolled: 1-line block ×4, first 2 shown]
	s_mov_b32 s7, 0
	.p2align	6
.LBB6_8:                                ; =>This Inner Loop Header: Depth=1
	global_load_dwordx4 v[16:19], v[6:7], off
	v_add_nc_u32_e32 v15, 8, v15
	v_add_co_u32 v6, s0, 0x1000, v6
	v_add_co_ci_u32_e64 v7, null, 0, v7, s0
	v_cmp_lt_u32_e64 s1, 23, v15
	s_or_b32 s7, s1, s7
	s_waitcnt vmcnt(0)
	ds_write_b128 v14, v[16:19]
	v_add_nc_u32_e32 v14, 0x1000, v14
	s_andn2_b32 exec_lo, exec_lo, s7
	s_cbranch_execnz .LBB6_8
.LBB6_9:                                ; =>This Loop Header: Depth=1
                                        ;     Child Loop BB6_10 Depth 2
	s_or_b32 exec_lo, exec_lo, s5
	v_mov_b32_e32 v14, 0
	v_mov_b32_e32 v16, v12
	;; [unrolled: 1-line block ×5, first 2 shown]
	s_mov_b32 s0, 0
	s_waitcnt lgkmcnt(0)
	s_barrier
	buffer_gl0_inv
.LBB6_10:                               ;   Parent Loop BB6_9 Depth=1
                                        ; =>  This Inner Loop Header: Depth=2
	v_add_nc_u32_e32 v53, s0, v0
	ds_read_b128 v[17:20], v16
	ds_read_b128 v[21:24], v16 offset:16
	ds_read_b128 v[25:28], v16 offset:1024
	;; [unrolled: 1-line block ×6, first 2 shown]
	s_add_i32 s0, s0, 2
	s_cmp_eq_u32 s0, 32
	v_and_b32_e32 v45, 31, v53
	v_add_nc_u32_e32 v53, 1, v53
	v_lshl_add_u32 v49, v45, 4, v8
	v_and_b32_e32 v53, 31, v53
	ds_read_b128 v[45:48], v16 offset:1552
	ds_read_b128 v[49:52], v49
	v_add_nc_u32_e32 v16, 32, v16
	v_lshl_add_u32 v53, v53, 4, v8
	ds_read_b128 v[53:56], v53
	s_waitcnt lgkmcnt(1)
	v_fmac_f32_e32 v14, v49, v17
	v_fmac_f32_e32 v15, v49, v33
	;; [unrolled: 1-line block ×16, first 2 shown]
	s_waitcnt lgkmcnt(0)
	v_fmac_f32_e32 v14, v53, v21
	v_fmac_f32_e32 v15, v53, v37
	;; [unrolled: 1-line block ×16, first 2 shown]
	s_cbranch_scc0 .LBB6_10
; %bb.11:                               ;   in Loop: Header=BB6_9 Depth=1
	v_cmp_gt_f32_e64 s0, v14, v3
	v_add_nc_u32_e32 v16, s4, v9
	s_barrier
	buffer_gl0_inv
	v_cndmask_b32_e64 v3, v3, v14, s0
	v_cndmask_b32_e64 v13, v13, v16, s0
	v_or_b32_e32 v14, 1, v16
	v_cmp_gt_f32_e64 s0, v15, v3
	v_cndmask_b32_e64 v3, v3, v15, s0
	v_cndmask_b32_e64 v13, v13, v14, s0
	v_or_b32_e32 v14, 2, v16
	v_cmp_gt_f32_e64 s0, v7, v3
	;; [unrolled: 4-line block ×3, first 2 shown]
	v_cndmask_b32_e64 v13, v13, v7, s0
	v_cndmask_b32_e64 v3, v3, v6, s0
	v_add_co_u32 v4, s0, 0x4000, v4
	v_add_co_ci_u32_e64 v5, null, 0, v5, s0
	s_add_i32 s0, s4, 32
	s_cmpk_gt_u32 s4, 0x3fdf
	s_cbranch_scc1 .LBB6_13
; %bb.12:                               ;   in Loop: Header=BB6_9 Depth=1
	s_mov_b32 s4, s0
	s_and_saveexec_b32 s5, vcc_lo
	s_cbranch_execnz .LBB6_7
	s_branch .LBB6_9
.LBB6_13:
	v_lshlrev_b32_e32 v2, 2, v2
	s_mov_b32 s0, exec_lo
	ds_write2st64_b32 v2, v3, v13 offset1:4
	s_waitcnt lgkmcnt(0)
	s_barrier
	buffer_gl0_inv
	v_cmpx_eq_u32_e32 0, v1
	s_cbranch_execz .LBB6_15
; %bb.14:
	v_lshlrev_b32_e32 v5, 2, v0
	v_add_nc_u32_e32 v6, 32, v0
	v_add_nc_u32_e32 v8, 64, v0
	ds_read2_b32 v[1:2], v5 offset1:32
	ds_read2_b32 v[3:4], v5 offset0:64 offset1:96
	s_waitcnt lgkmcnt(1)
	v_cmp_gt_f32_e32 vcc_lo, v2, v1
	v_cndmask_b32_e32 v7, v1, v2, vcc_lo
	v_cndmask_b32_e32 v6, v0, v6, vcc_lo
	ds_read2_b32 v[1:2], v5 offset0:128 offset1:160
	s_waitcnt lgkmcnt(1)
	v_cmp_gt_f32_e32 vcc_lo, v3, v7
	v_cndmask_b32_e32 v3, v7, v3, vcc_lo
	v_cndmask_b32_e32 v6, v6, v8, vcc_lo
	v_add_nc_u32_e32 v7, 0x60, v0
	v_add_nc_u32_e32 v8, 0x80, v0
	v_cmp_gt_f32_e32 vcc_lo, v4, v3
	v_cndmask_b32_e32 v6, v6, v7, vcc_lo
	v_cndmask_b32_e32 v7, v3, v4, vcc_lo
	ds_read2_b32 v[3:4], v5 offset0:192 offset1:224
	s_waitcnt lgkmcnt(1)
	v_cmp_gt_f32_e32 vcc_lo, v1, v7
	v_cndmask_b32_e32 v1, v7, v1, vcc_lo
	v_cndmask_b32_e32 v5, v6, v8, vcc_lo
	v_add_nc_u32_e32 v6, 0xa0, v0
	v_cmp_gt_f32_e32 vcc_lo, v2, v1
	v_cndmask_b32_e32 v1, v1, v2, vcc_lo
	v_cndmask_b32_e32 v5, v5, v6, vcc_lo
	v_add_nc_u32_e32 v2, 0xc0, v0
	s_waitcnt lgkmcnt(0)
	v_cmp_gt_f32_e32 vcc_lo, v3, v1
	v_cndmask_b32_e32 v3, v1, v3, vcc_lo
	v_cndmask_b32_e32 v2, v5, v2, vcc_lo
	v_add_nc_u32_e32 v1, 0xe0, v0
	v_lshl_add_u32 v0, s6, 5, v0
	v_cmp_gt_f32_e32 vcc_lo, v4, v3
	v_cndmask_b32_e32 v1, v2, v1, vcc_lo
	v_cndmask_b32_e32 v4, v3, v4, vcc_lo
	v_lshlrev_b32_e32 v2, 2, v1
	v_ashrrev_i32_e32 v1, 31, v0
	ds_read_b32 v5, v2 offset:1024
	v_lshlrev_b64 v[0:1], 2, v[0:1]
	v_add_co_u32 v2, vcc_lo, s10, v0
	v_add_co_ci_u32_e64 v3, null, s11, v1, vcc_lo
	v_add_co_u32 v0, vcc_lo, s2, v0
	v_add_co_ci_u32_e64 v1, null, s3, v1, vcc_lo
	global_store_dword v[2:3], v4, off
	s_waitcnt lgkmcnt(0)
	global_store_dword v[0:1], v5, off
.LBB6_15:
	s_endpgm
	.section	.rodata,"a",@progbits
	.p2align	6, 0x0
	.amdhsa_kernel _Z6Match7PKfS0_PfPi
		.amdhsa_group_segment_fixed_size 32768
		.amdhsa_private_segment_fixed_size 0
		.amdhsa_kernarg_size 32
		.amdhsa_user_sgpr_count 6
		.amdhsa_user_sgpr_private_segment_buffer 1
		.amdhsa_user_sgpr_dispatch_ptr 0
		.amdhsa_user_sgpr_queue_ptr 0
		.amdhsa_user_sgpr_kernarg_segment_ptr 1
		.amdhsa_user_sgpr_dispatch_id 0
		.amdhsa_user_sgpr_flat_scratch_init 0
		.amdhsa_user_sgpr_private_segment_size 0
		.amdhsa_wavefront_size32 1
		.amdhsa_uses_dynamic_stack 0
		.amdhsa_system_sgpr_private_segment_wavefront_offset 0
		.amdhsa_system_sgpr_workgroup_id_x 1
		.amdhsa_system_sgpr_workgroup_id_y 0
		.amdhsa_system_sgpr_workgroup_id_z 0
		.amdhsa_system_sgpr_workgroup_info 0
		.amdhsa_system_vgpr_workitem_id 1
		.amdhsa_next_free_vgpr 57
		.amdhsa_next_free_sgpr 12
		.amdhsa_reserve_vcc 1
		.amdhsa_reserve_flat_scratch 0
		.amdhsa_float_round_mode_32 0
		.amdhsa_float_round_mode_16_64 0
		.amdhsa_float_denorm_mode_32 3
		.amdhsa_float_denorm_mode_16_64 3
		.amdhsa_dx10_clamp 1
		.amdhsa_ieee_mode 1
		.amdhsa_fp16_overflow 0
		.amdhsa_workgroup_processor_mode 1
		.amdhsa_memory_ordered 1
		.amdhsa_forward_progress 1
		.amdhsa_shared_vgpr_count 0
		.amdhsa_exception_fp_ieee_invalid_op 0
		.amdhsa_exception_fp_denorm_src 0
		.amdhsa_exception_fp_ieee_div_zero 0
		.amdhsa_exception_fp_ieee_overflow 0
		.amdhsa_exception_fp_ieee_underflow 0
		.amdhsa_exception_fp_ieee_inexact 0
		.amdhsa_exception_int_div_zero 0
	.end_amdhsa_kernel
	.text
.Lfunc_end6:
	.size	_Z6Match7PKfS0_PfPi, .Lfunc_end6-_Z6Match7PKfS0_PfPi
                                        ; -- End function
	.set _Z6Match7PKfS0_PfPi.num_vgpr, 57
	.set _Z6Match7PKfS0_PfPi.num_agpr, 0
	.set _Z6Match7PKfS0_PfPi.numbered_sgpr, 12
	.set _Z6Match7PKfS0_PfPi.num_named_barrier, 0
	.set _Z6Match7PKfS0_PfPi.private_seg_size, 0
	.set _Z6Match7PKfS0_PfPi.uses_vcc, 1
	.set _Z6Match7PKfS0_PfPi.uses_flat_scratch, 0
	.set _Z6Match7PKfS0_PfPi.has_dyn_sized_stack, 0
	.set _Z6Match7PKfS0_PfPi.has_recursion, 0
	.set _Z6Match7PKfS0_PfPi.has_indirect_call, 0
	.section	.AMDGPU.csdata,"",@progbits
; Kernel info:
; codeLenInByte = 1248
; TotalNumSgprs: 14
; NumVgprs: 57
; ScratchSize: 0
; MemoryBound: 0
; FloatMode: 240
; IeeeMode: 1
; LDSByteSize: 32768 bytes/workgroup (compile time only)
; SGPRBlocks: 0
; VGPRBlocks: 7
; NumSGPRsForWavesPerEU: 14
; NumVGPRsForWavesPerEU: 57
; Occupancy: 16
; WaveLimiterHint : 0
; COMPUTE_PGM_RSRC2:SCRATCH_EN: 0
; COMPUTE_PGM_RSRC2:USER_SGPR: 6
; COMPUTE_PGM_RSRC2:TRAP_HANDLER: 0
; COMPUTE_PGM_RSRC2:TGID_X_EN: 1
; COMPUTE_PGM_RSRC2:TGID_Y_EN: 0
; COMPUTE_PGM_RSRC2:TGID_Z_EN: 0
; COMPUTE_PGM_RSRC2:TIDIG_COMP_CNT: 1
	.text
	.protected	_Z6Match8PKfS0_PfPi     ; -- Begin function _Z6Match8PKfS0_PfPi
	.globl	_Z6Match8PKfS0_PfPi
	.p2align	8
	.type	_Z6Match8PKfS0_PfPi,@function
_Z6Match8PKfS0_PfPi:                    ; @_Z6Match8PKfS0_PfPi
; %bb.0:
	v_or_b32_e32 v3, v0, v1
	v_lshlrev_b32_e32 v2, 5, v1
	v_lshlrev_b32_e32 v4, 9, v1
	v_cmp_lt_u32_e64 s0, 31, v3
	v_cmp_gt_u32_e32 vcc_lo, 32, v3
	s_and_saveexec_b32 s1, s0
	s_xor_b32 s0, exec_lo, s1
; %bb.1:
	v_lshlrev_b32_e32 v2, 5, v1
	v_lshlrev_b32_e32 v4, 9, v1
; %bb.2:
	s_or_saveexec_b32 s1, s0
	s_clause 0x1
	s_load_dwordx4 s[8:11], s[4:5], 0x8
	s_load_dwordx2 s[12:13], s[4:5], 0x18
	s_xor_b32 exec_lo, exec_lo, s1
	s_cbranch_execz .LBB7_6
; %bb.3:
	s_load_dwordx2 s[2:3], s[4:5], 0x0
	v_add_nc_u32_e32 v3, v1, v0
	v_lshl_add_u32 v5, s6, 10, v2
	v_mov_b32_e32 v6, v4
	v_mov_b32_e32 v7, v1
	s_mov_b32 s4, 0
	.p2align	6
.LBB7_4:                                ; =>This Inner Loop Header: Depth=1
	v_add_nc_u32_e32 v8, v0, v5
	v_and_b32_e32 v12, 31, v3
	v_add_nc_u32_e32 v13, 8, v7
	v_add_nc_u16 v3, v3, 8
	v_add_nc_u32_e32 v5, 0x100, v5
	v_ashrrev_i32_e32 v9, 31, v8
	v_lshl_add_u32 v12, v12, 4, v6
	v_add_nc_u32_e32 v6, 0x1000, v6
	v_lshlrev_b64 v[8:9], 4, v[8:9]
	s_waitcnt lgkmcnt(0)
	v_add_co_u32 v8, s0, s2, v8
	v_add_co_ci_u32_e64 v9, null, s3, v9, s0
	v_cmp_lt_u32_e64 s0, 23, v7
	v_mov_b32_e32 v7, v13
	global_load_dwordx4 v[8:11], v[8:9], off
	s_or_b32 s4, s0, s4
	s_waitcnt vmcnt(0)
	ds_write_b128 v12, v[8:11]
	s_andn2_b32 exec_lo, exec_lo, s4
	s_cbranch_execnz .LBB7_4
; %bb.5:
	s_or_b32 exec_lo, exec_lo, s4
.LBB7_6:
	s_or_b32 exec_lo, exec_lo, s1
	v_add_nc_u32_e32 v2, v2, v0
	v_mov_b32_e32 v3, 0
	v_lshlrev_b32_e32 v7, 4, v0
	v_and_b32_e32 v8, 15, v0
	v_mov_b32_e32 v14, -1
	v_lshrrev_b32_e32 v9, 4, v2
	v_lshlrev_b64 v[5:6], 4, v[2:3]
	v_add3_u32 v11, v4, v7, 0x4000
	v_add_nc_u32_e32 v10, -8, v1
	v_cmp_gt_u32_e64 s0, 0x80, v2
	v_lshlrev_b32_e32 v2, 9, v8
	v_lshlrev_b32_e32 v12, 2, v9
	s_waitcnt lgkmcnt(0)
	v_add_co_u32 v4, s1, s8, v5
	v_add_co_ci_u32_e64 v5, null, s9, v6, s1
	v_lshl_add_u32 v13, v9, 11, 0x4000
	v_mov_b32_e32 v15, v14
	v_mov_b32_e32 v16, v3
	s_mov_b32 s3, 0
	s_and_saveexec_b32 s4, vcc_lo
	s_cbranch_execz .LBB7_9
.LBB7_7:
	v_mov_b32_e32 v7, v5
	v_mov_b32_e32 v6, v4
	;; [unrolled: 1-line block ×4, first 2 shown]
	s_mov_b32 s5, 0
	.p2align	6
.LBB7_8:                                ; =>This Inner Loop Header: Depth=1
	global_load_dwordx4 v[19:22], v[6:7], off
	v_add_nc_u32_e32 v18, 8, v18
	v_add_co_u32 v6, s1, 0x1000, v6
	v_add_co_ci_u32_e64 v7, null, 0, v7, s1
	v_cmp_lt_u32_e64 s2, 23, v18
	s_or_b32 s5, s2, s5
	s_waitcnt vmcnt(0)
	ds_write_b128 v17, v[19:22]
	v_add_nc_u32_e32 v17, 0x1000, v17
	s_andn2_b32 exec_lo, exec_lo, s5
	s_cbranch_execnz .LBB7_8
.LBB7_9:                                ; =>This Loop Header: Depth=1
                                        ;     Child Loop BB7_11 Depth 2
	s_or_b32 exec_lo, exec_lo, s4
	s_waitcnt lgkmcnt(0)
	s_barrier
	buffer_gl0_inv
	s_and_saveexec_b32 s4, s0
	s_cbranch_execz .LBB7_13
; %bb.10:                               ;   in Loop: Header=BB7_9 Depth=1
	v_mov_b32_e32 v21, 0
	v_mov_b32_e32 v23, v8
	;; [unrolled: 1-line block ×9, first 2 shown]
	s_mov_b32 s1, 0
.LBB7_11:                               ;   Parent Loop BB7_9 Depth=1
                                        ; =>  This Inner Loop Header: Depth=2
	v_and_b32_e32 v28, 31, v23
	v_add_nc_u32_e32 v40, s1, v13
	s_add_i32 s1, s1, 32
	s_cmpk_eq_i32 s1, 0x200
	v_lshl_add_u32 v24, v28, 4, v2
	v_xor_b32_e32 v28, 16, v28
	ds_read_b128 v[24:27], v24
	v_lshl_add_u32 v28, v28, 4, v2
	ds_read_b128 v[28:31], v28 offset:8192
	ds_read_b128 v[32:35], v40
	ds_read_b128 v[36:39], v40 offset:16
	s_waitcnt lgkmcnt(1)
	v_fmac_f32_e32 v21, v32, v24
	v_fmac_f32_e32 v22, v32, v28
	v_fmac_f32_e32 v21, v33, v25
	v_fmac_f32_e32 v22, v33, v29
	v_fmac_f32_e32 v21, v34, v26
	v_fmac_f32_e32 v22, v34, v30
	v_fmac_f32_e32 v21, v35, v27
	v_fmac_f32_e32 v22, v35, v31
	ds_read_b128 v[32:35], v40 offset:512
	s_waitcnt lgkmcnt(0)
	v_fmac_f32_e32 v19, v32, v24
	v_fmac_f32_e32 v20, v32, v28
	v_fmac_f32_e32 v19, v33, v25
	v_fmac_f32_e32 v20, v33, v29
	v_fmac_f32_e32 v19, v34, v26
	v_fmac_f32_e32 v20, v34, v30
	v_fmac_f32_e32 v19, v35, v27
	v_fmac_f32_e32 v20, v35, v31
	;; [unrolled: 10-line block ×3, first 2 shown]
	ds_read_b128 v[32:35], v40 offset:1536
	s_waitcnt lgkmcnt(0)
	v_fmac_f32_e32 v7, v32, v24
	v_add_nc_u32_e32 v24, 1, v23
	v_fmac_f32_e32 v6, v32, v28
	v_add_nc_u32_e32 v23, 2, v23
	v_fmac_f32_e32 v7, v33, v25
	v_and_b32_e32 v28, 31, v24
	v_fmac_f32_e32 v6, v33, v29
	v_fmac_f32_e32 v7, v34, v26
	v_lshl_add_u32 v24, v28, 4, v2
	v_xor_b32_e32 v28, 16, v28
	v_fmac_f32_e32 v6, v34, v30
	v_fmac_f32_e32 v7, v35, v27
	ds_read_b128 v[24:27], v24
	v_lshl_add_u32 v28, v28, 4, v2
	v_fmac_f32_e32 v6, v35, v31
	ds_read_b128 v[32:35], v40 offset:528
	ds_read_b128 v[28:31], v28 offset:8192
	s_waitcnt lgkmcnt(2)
	v_fmac_f32_e32 v21, v36, v24
	s_waitcnt lgkmcnt(1)
	v_fmac_f32_e32 v19, v32, v24
	v_fmac_f32_e32 v21, v37, v25
	s_waitcnt lgkmcnt(0)
	v_fmac_f32_e32 v20, v32, v28
	v_fmac_f32_e32 v22, v36, v28
	;; [unrolled: 1-line block ×12, first 2 shown]
	ds_read_b128 v[32:35], v40 offset:1040
	v_fmac_f32_e32 v22, v39, v31
	s_waitcnt lgkmcnt(0)
	v_fmac_f32_e32 v17, v32, v24
	v_fmac_f32_e32 v18, v32, v28
	;; [unrolled: 1-line block ×8, first 2 shown]
	ds_read_b128 v[32:35], v40 offset:1552
	s_waitcnt lgkmcnt(0)
	v_fmac_f32_e32 v7, v32, v24
	v_fmac_f32_e32 v6, v32, v28
	;; [unrolled: 1-line block ×8, first 2 shown]
	s_cbranch_scc0 .LBB7_11
; %bb.12:                               ;   in Loop: Header=BB7_9 Depth=1
	v_cmp_gt_f32_e64 s1, v21, v16
	v_cmp_gt_f32_e64 s2, v22, v3
	v_or_b32_e32 v23, s3, v12
	v_cndmask_b32_e64 v16, v16, v21, s1
	v_cndmask_b32_e64 v3, v3, v22, s2
	v_cndmask_b32_e64 v14, v14, v23, s1
	v_cndmask_b32_e64 v15, v15, v23, s2
	v_or_b32_e32 v21, 1, v23
	v_cmp_gt_f32_e64 s1, v19, v16
	v_cmp_gt_f32_e64 s2, v20, v3
	v_cndmask_b32_e64 v16, v16, v19, s1
	v_cndmask_b32_e64 v3, v3, v20, s2
	v_cndmask_b32_e64 v14, v14, v21, s1
	v_cndmask_b32_e64 v15, v15, v21, s2
	v_or_b32_e32 v19, 2, v23
	v_cmp_gt_f32_e64 s1, v17, v16
	v_cmp_gt_f32_e64 s2, v18, v3
	;; [unrolled: 7-line block ×3, first 2 shown]
	v_cndmask_b32_e64 v14, v14, v17, s1
	v_cndmask_b32_e64 v15, v15, v17, s2
	;; [unrolled: 1-line block ×4, first 2 shown]
.LBB7_13:                               ;   in Loop: Header=BB7_9 Depth=1
	s_or_b32 exec_lo, exec_lo, s4
	v_add_co_u32 v4, s1, 0x4000, v4
	v_add_co_ci_u32_e64 v5, null, 0, v5, s1
	s_add_i32 s1, s3, 32
	s_cmpk_gt_u32 s3, 0x3fdf
	s_barrier
	buffer_gl0_inv
	s_cbranch_scc1 .LBB7_15
; %bb.14:                               ;   in Loop: Header=BB7_9 Depth=1
	s_mov_b32 s3, s1
	s_and_saveexec_b32 s4, vcc_lo
	s_cbranch_execnz .LBB7_7
	s_branch .LBB7_9
.LBB7_15:
	s_and_saveexec_b32 s1, s0
	s_cbranch_execz .LBB7_17
; %bb.16:
	v_lshlrev_b32_e32 v2, 2, v8
	v_lshl_or_b32 v2, v9, 7, v2
	v_add_nc_u32_e32 v4, 0x400, v2
	ds_write2_b32 v2, v16, v3 offset1:16
	ds_write2_b32 v4, v14, v15 offset1:16
.LBB7_17:
	s_or_b32 exec_lo, exec_lo, s1
	s_waitcnt lgkmcnt(0)
	s_barrier
	buffer_gl0_inv
	s_mov_b32 s0, exec_lo
	v_cmpx_eq_u32_e32 0, v1
	s_cbranch_execz .LBB7_19
; %bb.18:
	v_lshlrev_b32_e32 v7, 2, v0
	v_add_nc_u32_e32 v8, 32, v0
	v_add_nc_u32_e32 v9, 64, v0
	;; [unrolled: 1-line block ×3, first 2 shown]
	ds_read2_b32 v[1:2], v7 offset1:32
	ds_read2_b32 v[3:4], v7 offset0:64 offset1:96
	ds_read2_b32 v[5:6], v7 offset0:128 offset1:160
	s_waitcnt lgkmcnt(2)
	v_cmp_gt_f32_e32 vcc_lo, v2, v1
	v_cndmask_b32_e32 v1, v1, v2, vcc_lo
	v_cndmask_b32_e32 v8, v0, v8, vcc_lo
	s_waitcnt lgkmcnt(1)
	v_cmp_gt_f32_e32 vcc_lo, v3, v1
	v_cndmask_b32_e32 v3, v1, v3, vcc_lo
	ds_read2_b32 v[1:2], v7 offset0:192 offset1:224
	v_cndmask_b32_e32 v7, v8, v9, vcc_lo
	v_cmp_gt_f32_e32 vcc_lo, v4, v3
	v_cndmask_b32_e32 v3, v3, v4, vcc_lo
	v_cndmask_b32_e32 v7, v7, v10, vcc_lo
	v_add_nc_u32_e32 v4, 0x80, v0
	s_waitcnt lgkmcnt(1)
	v_cmp_gt_f32_e32 vcc_lo, v5, v3
	v_cndmask_b32_e32 v3, v3, v5, vcc_lo
	v_cndmask_b32_e32 v4, v7, v4, vcc_lo
	v_add_nc_u32_e32 v5, 0xa0, v0
	v_cmp_gt_f32_e32 vcc_lo, v6, v3
	v_cndmask_b32_e32 v3, v3, v6, vcc_lo
	v_cndmask_b32_e32 v4, v4, v5, vcc_lo
	v_add_nc_u32_e32 v6, 0xc0, v0
	s_waitcnt lgkmcnt(0)
	v_cmp_gt_f32_e32 vcc_lo, v1, v3
	v_cndmask_b32_e32 v1, v3, v1, vcc_lo
	v_add_nc_u32_e32 v3, 0xe0, v0
	v_cndmask_b32_e32 v4, v4, v6, vcc_lo
	v_lshl_add_u32 v0, s6, 5, v0
	v_cmp_gt_f32_e32 vcc_lo, v2, v1
	v_cndmask_b32_e32 v5, v1, v2, vcc_lo
	v_cndmask_b32_e32 v1, v4, v3, vcc_lo
	v_lshlrev_b32_e32 v2, 2, v1
	v_ashrrev_i32_e32 v1, 31, v0
	ds_read_b32 v4, v2 offset:1024
	v_lshlrev_b64 v[0:1], 2, v[0:1]
	v_add_co_u32 v2, vcc_lo, s10, v0
	v_add_co_ci_u32_e64 v3, null, s11, v1, vcc_lo
	v_add_co_u32 v0, vcc_lo, s12, v0
	v_add_co_ci_u32_e64 v1, null, s13, v1, vcc_lo
	global_store_dword v[2:3], v5, off
	s_waitcnt lgkmcnt(0)
	global_store_dword v[0:1], v4, off
.LBB7_19:
	s_endpgm
	.section	.rodata,"a",@progbits
	.p2align	6, 0x0
	.amdhsa_kernel _Z6Match8PKfS0_PfPi
		.amdhsa_group_segment_fixed_size 32768
		.amdhsa_private_segment_fixed_size 0
		.amdhsa_kernarg_size 32
		.amdhsa_user_sgpr_count 6
		.amdhsa_user_sgpr_private_segment_buffer 1
		.amdhsa_user_sgpr_dispatch_ptr 0
		.amdhsa_user_sgpr_queue_ptr 0
		.amdhsa_user_sgpr_kernarg_segment_ptr 1
		.amdhsa_user_sgpr_dispatch_id 0
		.amdhsa_user_sgpr_flat_scratch_init 0
		.amdhsa_user_sgpr_private_segment_size 0
		.amdhsa_wavefront_size32 1
		.amdhsa_uses_dynamic_stack 0
		.amdhsa_system_sgpr_private_segment_wavefront_offset 0
		.amdhsa_system_sgpr_workgroup_id_x 1
		.amdhsa_system_sgpr_workgroup_id_y 0
		.amdhsa_system_sgpr_workgroup_id_z 0
		.amdhsa_system_sgpr_workgroup_info 0
		.amdhsa_system_vgpr_workitem_id 1
		.amdhsa_next_free_vgpr 41
		.amdhsa_next_free_sgpr 14
		.amdhsa_reserve_vcc 1
		.amdhsa_reserve_flat_scratch 0
		.amdhsa_float_round_mode_32 0
		.amdhsa_float_round_mode_16_64 0
		.amdhsa_float_denorm_mode_32 3
		.amdhsa_float_denorm_mode_16_64 3
		.amdhsa_dx10_clamp 1
		.amdhsa_ieee_mode 1
		.amdhsa_fp16_overflow 0
		.amdhsa_workgroup_processor_mode 1
		.amdhsa_memory_ordered 1
		.amdhsa_forward_progress 1
		.amdhsa_shared_vgpr_count 0
		.amdhsa_exception_fp_ieee_invalid_op 0
		.amdhsa_exception_fp_denorm_src 0
		.amdhsa_exception_fp_ieee_div_zero 0
		.amdhsa_exception_fp_ieee_overflow 0
		.amdhsa_exception_fp_ieee_underflow 0
		.amdhsa_exception_fp_ieee_inexact 0
		.amdhsa_exception_int_div_zero 0
	.end_amdhsa_kernel
	.text
.Lfunc_end7:
	.size	_Z6Match8PKfS0_PfPi, .Lfunc_end7-_Z6Match8PKfS0_PfPi
                                        ; -- End function
	.set _Z6Match8PKfS0_PfPi.num_vgpr, 41
	.set _Z6Match8PKfS0_PfPi.num_agpr, 0
	.set _Z6Match8PKfS0_PfPi.numbered_sgpr, 14
	.set _Z6Match8PKfS0_PfPi.num_named_barrier, 0
	.set _Z6Match8PKfS0_PfPi.private_seg_size, 0
	.set _Z6Match8PKfS0_PfPi.uses_vcc, 1
	.set _Z6Match8PKfS0_PfPi.uses_flat_scratch, 0
	.set _Z6Match8PKfS0_PfPi.has_dyn_sized_stack, 0
	.set _Z6Match8PKfS0_PfPi.has_recursion, 0
	.set _Z6Match8PKfS0_PfPi.has_indirect_call, 0
	.section	.AMDGPU.csdata,"",@progbits
; Kernel info:
; codeLenInByte = 1668
; TotalNumSgprs: 16
; NumVgprs: 41
; ScratchSize: 0
; MemoryBound: 0
; FloatMode: 240
; IeeeMode: 1
; LDSByteSize: 32768 bytes/workgroup (compile time only)
; SGPRBlocks: 0
; VGPRBlocks: 5
; NumSGPRsForWavesPerEU: 16
; NumVGPRsForWavesPerEU: 41
; Occupancy: 16
; WaveLimiterHint : 0
; COMPUTE_PGM_RSRC2:SCRATCH_EN: 0
; COMPUTE_PGM_RSRC2:USER_SGPR: 6
; COMPUTE_PGM_RSRC2:TRAP_HANDLER: 0
; COMPUTE_PGM_RSRC2:TGID_X_EN: 1
; COMPUTE_PGM_RSRC2:TGID_Y_EN: 0
; COMPUTE_PGM_RSRC2:TGID_Z_EN: 0
; COMPUTE_PGM_RSRC2:TIDIG_COMP_CNT: 1
	.text
	.protected	_Z6Match9PKfS0_PfPi     ; -- Begin function _Z6Match9PKfS0_PfPi
	.globl	_Z6Match9PKfS0_PfPi
	.p2align	8
	.type	_Z6Match9PKfS0_PfPi,@function
_Z6Match9PKfS0_PfPi:                    ; @_Z6Match9PKfS0_PfPi
; %bb.0:
	s_load_dwordx2 s[2:3], s[4:5], 0x8
	v_or_b32_e32 v2, v0, v1
	v_cmp_gt_u32_e32 vcc_lo, 32, v2
	v_cmp_lt_u32_e64 s0, 31, v2
	v_lshlrev_b32_e32 v2, 9, v1
	s_and_saveexec_b32 s1, s0
	s_xor_b32 s0, exec_lo, s1
; %bb.1:
	v_lshlrev_b32_e32 v2, 9, v1
; %bb.2:
	s_or_saveexec_b32 s1, s0
	s_load_dwordx4 s[8:11], s[4:5], 0x10
	s_lshl_b32 s6, s6, 5
	s_xor_b32 exec_lo, exec_lo, s1
	s_cbranch_execz .LBB8_18
; %bb.3:
	v_or_b32_e32 v3, s6, v1
	s_load_dwordx2 s[4:5], s[4:5], 0x0
	v_add_nc_u32_e32 v7, v1, v0
	s_mov_b32 s7, exec_lo
	v_lshl_or_b32 v3, v3, 5, v0
	v_and_b32_e32 v7, 31, v7
	v_ashrrev_i32_e32 v4, 31, v3
	v_lshl_or_b32 v7, v7, 4, v2
	v_lshlrev_b64 v[3:4], 4, v[3:4]
	s_waitcnt lgkmcnt(0)
	v_add_co_u32 v3, s0, s4, v3
	v_add_co_ci_u32_e64 v4, null, s5, v4, s0
	global_load_dwordx4 v[3:6], v[3:4], off
	s_waitcnt vmcnt(0)
	ds_write_b128 v7, v[3:6]
	v_cmpx_gt_u32_e32 28, v1
	s_xor_b32 s7, exec_lo, s7
	s_cbranch_execz .LBB8_17
; %bb.4:
	v_add_nc_u32_e32 v7, 4, v1
	s_mov_b32 s12, exec_lo
	v_add_nc_u32_e32 v3, s6, v7
	v_add_nc_u32_e32 v8, v7, v0
	v_lshl_or_b32 v3, v3, 5, v0
	v_and_b32_e32 v8, 31, v8
	v_ashrrev_i32_e32 v4, 31, v3
	v_lshlrev_b32_e32 v8, 4, v8
	v_lshlrev_b64 v[3:4], 4, v[3:4]
	v_lshl_or_b32 v7, v7, 9, v8
	v_add_co_u32 v3, s0, s4, v3
	v_add_co_ci_u32_e64 v4, null, s5, v4, s0
	global_load_dwordx4 v[3:6], v[3:4], off
	s_waitcnt vmcnt(0)
	ds_write_b128 v7, v[3:6]
	v_cmpx_gt_u32_e32 24, v1
	s_xor_b32 s12, exec_lo, s12
	s_cbranch_execz .LBB8_16
; %bb.5:
	v_add_nc_u32_e32 v7, 8, v1
	s_mov_b32 s13, exec_lo
	v_add_nc_u32_e32 v3, s6, v7
	v_add_nc_u32_e32 v8, v7, v0
	v_lshl_or_b32 v3, v3, 5, v0
	v_and_b32_e32 v8, 31, v8
	v_ashrrev_i32_e32 v4, 31, v3
	v_lshlrev_b32_e32 v8, 4, v8
	v_lshlrev_b64 v[3:4], 4, v[3:4]
	v_lshl_or_b32 v7, v7, 9, v8
	;; [unrolled: 19-line block ×3, first 2 shown]
	v_add_co_u32 v3, s0, s4, v3
	v_add_co_ci_u32_e64 v4, null, s5, v4, s0
	global_load_dwordx4 v[3:6], v[3:4], off
	s_waitcnt vmcnt(0)
	ds_write_b128 v7, v[3:6]
	v_cmpx_gt_u32_e32 16, v1
	s_xor_b32 s14, exec_lo, s14
	s_cbranch_execz .LBB8_14
; %bb.7:
	v_or_b32_e32 v7, 16, v1
	s_mov_b32 s15, exec_lo
	v_or_b32_e32 v3, s6, v7
	v_add_nc_u32_e32 v8, v7, v0
	v_lshl_or_b32 v3, v3, 5, v0
	v_and_b32_e32 v8, 31, v8
	v_ashrrev_i32_e32 v4, 31, v3
	v_lshlrev_b32_e32 v8, 4, v8
	v_lshlrev_b64 v[3:4], 4, v[3:4]
	v_lshl_or_b32 v8, v7, 9, v8
	v_add_co_u32 v3, s0, s4, v3
	v_add_co_ci_u32_e64 v4, null, s5, v4, s0
	global_load_dwordx4 v[3:6], v[3:4], off
	s_waitcnt vmcnt(0)
	ds_write_b128 v8, v[3:6]
	v_cmpx_gt_u32_e32 28, v7
	s_xor_b32 s15, exec_lo, s15
	s_cbranch_execz .LBB8_13
; %bb.8:
	v_add_nc_u32_e32 v7, 20, v1
	s_mov_b32 s16, exec_lo
	v_add_nc_u32_e32 v3, s6, v7
	v_add_nc_u32_e32 v8, v7, v0
	v_lshl_or_b32 v3, v3, 5, v0
	v_and_b32_e32 v8, 31, v8
	v_ashrrev_i32_e32 v4, 31, v3
	v_lshlrev_b32_e32 v8, 4, v8
	v_lshlrev_b64 v[3:4], 4, v[3:4]
	v_lshl_or_b32 v7, v7, 9, v8
	v_add_co_u32 v3, s0, s4, v3
	v_add_co_ci_u32_e64 v4, null, s5, v4, s0
	global_load_dwordx4 v[3:6], v[3:4], off
	s_waitcnt vmcnt(0)
	ds_write_b128 v7, v[3:6]
	v_cmpx_gt_u32_e32 8, v1
	s_xor_b32 s16, exec_lo, s16
	s_cbranch_execz .LBB8_12
; %bb.9:
	v_or_b32_e32 v7, 24, v1
	s_mov_b32 s17, exec_lo
	v_or_b32_e32 v3, s6, v7
	v_add_nc_u32_e32 v8, v7, v0
	v_lshl_or_b32 v3, v3, 5, v0
	v_and_b32_e32 v8, 31, v8
	v_ashrrev_i32_e32 v4, 31, v3
	v_lshlrev_b32_e32 v8, 4, v8
	v_lshlrev_b64 v[3:4], 4, v[3:4]
	v_lshl_or_b32 v8, v7, 9, v8
	v_add_co_u32 v3, s0, s4, v3
	v_add_co_ci_u32_e64 v4, null, s5, v4, s0
	global_load_dwordx4 v[3:6], v[3:4], off
	s_waitcnt vmcnt(0)
	ds_write_b128 v8, v[3:6]
	v_cmpx_gt_u32_e32 28, v7
	s_xor_b32 s17, exec_lo, s17
	s_cbranch_execz .LBB8_11
; %bb.10:
	v_add_nc_u32_e32 v7, 28, v1
	v_add_nc_u32_e32 v3, s6, v7
	;; [unrolled: 1-line block ×3, first 2 shown]
	v_lshl_or_b32 v3, v3, 5, v0
	v_and_b32_e32 v8, 31, v8
	v_ashrrev_i32_e32 v4, 31, v3
	v_lshlrev_b32_e32 v8, 4, v8
	v_lshlrev_b64 v[3:4], 4, v[3:4]
	v_lshl_or_b32 v7, v7, 9, v8
	v_add_co_u32 v3, s0, s4, v3
	v_add_co_ci_u32_e64 v4, null, s5, v4, s0
	global_load_dwordx4 v[3:6], v[3:4], off
	s_waitcnt vmcnt(0)
	ds_write_b128 v7, v[3:6]
.LBB8_11:
	s_or_b32 exec_lo, exec_lo, s17
.LBB8_12:
	s_or_b32 exec_lo, exec_lo, s16
.LBB8_13:
	s_or_b32 exec_lo, exec_lo, s15
.LBB8_14:
	s_or_b32 exec_lo, exec_lo, s14
.LBB8_15:
	s_or_b32 exec_lo, exec_lo, s13
.LBB8_16:
	s_or_b32 exec_lo, exec_lo, s12
.LBB8_17:
	s_or_b32 exec_lo, exec_lo, s7
.LBB8_18:
	s_or_b32 exec_lo, exec_lo, s1
	v_lshl_add_u32 v8, v1, 5, v0
	v_lshlrev_b32_e32 v3, 4, v0
	v_and_b32_e32 v6, 15, v0
	v_add_nc_u32_e32 v9, -4, v1
	v_mov_b32_e32 v14, 0
	v_lshlrev_b32_e32 v4, 4, v8
	v_lshrrev_b32_e32 v7, 4, v8
	v_add3_u32 v11, v2, v3, 0x4000
	v_lshlrev_b32_e32 v10, 9, v6
	v_mov_b32_e32 v15, -1
	s_waitcnt lgkmcnt(0)
	v_add_co_u32 v2, s0, s2, v4
	v_lshlrev_b32_e32 v12, 2, v7
	v_add_co_ci_u32_e64 v3, null, s3, 0, s0
	v_lshl_add_u32 v13, v7, 11, 0x4000
	v_mov_b32_e32 v16, 0
	v_mov_b32_e32 v17, -1
	s_mov_b32 s2, 0
	s_and_saveexec_b32 s3, vcc_lo
	s_cbranch_execz .LBB8_21
.LBB8_19:
	v_mov_b32_e32 v5, v3
	v_mov_b32_e32 v4, v2
	;; [unrolled: 1-line block ×4, first 2 shown]
	s_mov_b32 s4, 0
	.p2align	6
.LBB8_20:                               ; =>This Inner Loop Header: Depth=1
	global_load_dwordx4 v[20:23], v[4:5], off
	v_add_nc_u32_e32 v19, 4, v19
	v_add_co_u32 v4, s0, 0x800, v4
	v_add_co_ci_u32_e64 v5, null, 0, v5, s0
	v_cmp_lt_u32_e64 s1, 27, v19
	s_or_b32 s4, s1, s4
	s_waitcnt vmcnt(0)
	ds_write_b128 v18, v[20:23]
	v_add_nc_u32_e32 v18, 0x800, v18
	s_andn2_b32 exec_lo, exec_lo, s4
	s_cbranch_execnz .LBB8_20
.LBB8_21:                               ; =>This Loop Header: Depth=1
                                        ;     Child Loop BB8_22 Depth 2
	s_or_b32 exec_lo, exec_lo, s3
	v_mov_b32_e32 v22, 0
	v_mov_b32_e32 v24, v6
	v_mov_b32_e32 v23, 0
	v_mov_b32_e32 v20, 0
	v_mov_b32_e32 v21, 0
	v_mov_b32_e32 v18, 0
	v_mov_b32_e32 v19, 0
	v_mov_b32_e32 v4, 0
	v_mov_b32_e32 v5, 0
	s_mov_b32 s0, 0
	s_waitcnt lgkmcnt(0)
	s_barrier
	buffer_gl0_inv
.LBB8_22:                               ;   Parent Loop BB8_21 Depth=1
                                        ; =>  This Inner Loop Header: Depth=2
	v_and_b32_e32 v29, 31, v24
	v_add_nc_u32_e32 v41, s0, v13
	s_add_i32 s0, s0, 32
	s_cmpk_eq_i32 s0, 0x200
	v_lshl_add_u32 v25, v29, 4, v10
	v_xor_b32_e32 v29, 16, v29
	ds_read_b128 v[25:28], v25
	v_lshl_add_u32 v29, v29, 4, v10
	ds_read_b128 v[29:32], v29 offset:8192
	ds_read_b128 v[33:36], v41
	ds_read_b128 v[37:40], v41 offset:16
	s_waitcnt lgkmcnt(1)
	v_fmac_f32_e32 v22, v33, v25
	v_fmac_f32_e32 v23, v33, v29
	v_fmac_f32_e32 v22, v34, v26
	v_fmac_f32_e32 v23, v34, v30
	v_fmac_f32_e32 v22, v35, v27
	v_fmac_f32_e32 v23, v35, v31
	v_fmac_f32_e32 v22, v36, v28
	v_fmac_f32_e32 v23, v36, v32
	ds_read_b128 v[33:36], v41 offset:512
	s_waitcnt lgkmcnt(0)
	v_fmac_f32_e32 v20, v33, v25
	v_fmac_f32_e32 v21, v33, v29
	v_fmac_f32_e32 v20, v34, v26
	v_fmac_f32_e32 v21, v34, v30
	v_fmac_f32_e32 v20, v35, v27
	v_fmac_f32_e32 v21, v35, v31
	v_fmac_f32_e32 v20, v36, v28
	v_fmac_f32_e32 v21, v36, v32
	;; [unrolled: 10-line block ×3, first 2 shown]
	ds_read_b128 v[33:36], v41 offset:1536
	s_waitcnt lgkmcnt(0)
	v_fmac_f32_e32 v4, v33, v25
	v_add_nc_u32_e32 v25, 1, v24
	v_fmac_f32_e32 v5, v33, v29
	v_add_nc_u32_e32 v24, 2, v24
	v_fmac_f32_e32 v4, v34, v26
	v_and_b32_e32 v29, 31, v25
	v_fmac_f32_e32 v5, v34, v30
	v_fmac_f32_e32 v4, v35, v27
	v_lshl_add_u32 v25, v29, 4, v10
	v_xor_b32_e32 v29, 16, v29
	v_fmac_f32_e32 v5, v35, v31
	v_fmac_f32_e32 v4, v36, v28
	ds_read_b128 v[25:28], v25
	v_lshl_add_u32 v29, v29, 4, v10
	v_fmac_f32_e32 v5, v36, v32
	ds_read_b128 v[33:36], v41 offset:528
	ds_read_b128 v[29:32], v29 offset:8192
	s_waitcnt lgkmcnt(2)
	v_fmac_f32_e32 v22, v37, v25
	s_waitcnt lgkmcnt(1)
	v_fmac_f32_e32 v20, v33, v25
	v_fmac_f32_e32 v22, v38, v26
	s_waitcnt lgkmcnt(0)
	v_fmac_f32_e32 v21, v33, v29
	v_fmac_f32_e32 v23, v37, v29
	;; [unrolled: 1-line block ×12, first 2 shown]
	ds_read_b128 v[33:36], v41 offset:1040
	v_fmac_f32_e32 v23, v40, v32
	s_waitcnt lgkmcnt(0)
	v_fmac_f32_e32 v18, v33, v25
	v_fmac_f32_e32 v19, v33, v29
	;; [unrolled: 1-line block ×8, first 2 shown]
	ds_read_b128 v[33:36], v41 offset:1552
	s_waitcnt lgkmcnt(0)
	v_fmac_f32_e32 v4, v33, v25
	v_fmac_f32_e32 v5, v33, v29
	;; [unrolled: 1-line block ×8, first 2 shown]
	s_cbranch_scc0 .LBB8_22
; %bb.23:                               ;   in Loop: Header=BB8_21 Depth=1
	v_cmp_gt_f32_e64 s0, v22, v14
	v_cmp_gt_f32_e64 s1, v23, v16
	v_add_nc_u32_e32 v24, s2, v12
	s_barrier
	v_cndmask_b32_e64 v14, v14, v22, s0
	v_cndmask_b32_e64 v16, v16, v23, s1
	;; [unrolled: 1-line block ×4, first 2 shown]
	v_or_b32_e32 v22, 1, v24
	v_cmp_gt_f32_e64 s0, v20, v14
	v_cmp_gt_f32_e64 s1, v21, v16
	buffer_gl0_inv
	v_cndmask_b32_e64 v14, v14, v20, s0
	v_cndmask_b32_e64 v16, v16, v21, s1
	;; [unrolled: 1-line block ×4, first 2 shown]
	v_or_b32_e32 v20, 2, v24
	v_cmp_gt_f32_e64 s0, v18, v14
	v_cmp_gt_f32_e64 s1, v19, v16
	v_cndmask_b32_e64 v14, v14, v18, s0
	v_cndmask_b32_e64 v16, v16, v19, s1
	;; [unrolled: 1-line block ×3, first 2 shown]
	v_or_b32_e32 v18, 3, v24
	v_cndmask_b32_e64 v17, v17, v20, s1
	v_cmp_gt_f32_e64 s0, v4, v14
	v_cmp_gt_f32_e64 s1, v5, v16
	v_cndmask_b32_e64 v15, v15, v18, s0
	v_cndmask_b32_e64 v14, v14, v4, s0
	v_add_co_u32 v2, s0, 0x4000, v2
	v_cndmask_b32_e64 v17, v17, v18, s1
	v_cndmask_b32_e64 v16, v16, v5, s1
	v_add_co_ci_u32_e64 v3, null, 0, v3, s0
	s_add_i32 s0, s2, 32
	s_cmpk_gt_u32 s2, 0x3fdf
	s_cbranch_scc1 .LBB8_25
; %bb.24:                               ;   in Loop: Header=BB8_21 Depth=1
	s_mov_b32 s2, s0
	s_and_saveexec_b32 s3, vcc_lo
	s_cbranch_execnz .LBB8_19
	s_branch .LBB8_21
.LBB8_25:
	s_mov_b32 s0, exec_lo
	v_cmpx_gt_u32_e32 0x80, v8
	s_cbranch_execz .LBB8_27
; %bb.26:
	v_lshlrev_b32_e32 v2, 2, v6
	v_lshl_or_b32 v2, v7, 7, v2
	v_add_nc_u32_e32 v3, 0x400, v2
	ds_write2_b32 v2, v14, v16 offset1:16
	ds_write2_b32 v3, v15, v17 offset1:16
.LBB8_27:
	s_or_b32 exec_lo, exec_lo, s0
	s_waitcnt lgkmcnt(0)
	s_barrier
	buffer_gl0_inv
	s_mov_b32 s0, exec_lo
	v_cmpx_eq_u32_e32 0, v1
	s_cbranch_execz .LBB8_29
; %bb.28:
	v_lshlrev_b32_e32 v7, 2, v0
	v_add_nc_u32_e32 v8, 32, v0
	v_add_nc_u32_e32 v9, 64, v0
	;; [unrolled: 1-line block ×3, first 2 shown]
	ds_read2_b32 v[1:2], v7 offset1:32
	ds_read2_b32 v[3:4], v7 offset0:64 offset1:96
	ds_read2_b32 v[5:6], v7 offset0:128 offset1:160
	s_waitcnt lgkmcnt(2)
	v_cmp_gt_f32_e32 vcc_lo, v2, v1
	v_cndmask_b32_e32 v1, v1, v2, vcc_lo
	v_cndmask_b32_e32 v8, v0, v8, vcc_lo
	s_waitcnt lgkmcnt(1)
	v_cmp_gt_f32_e32 vcc_lo, v3, v1
	v_cndmask_b32_e32 v3, v1, v3, vcc_lo
	ds_read2_b32 v[1:2], v7 offset0:192 offset1:224
	v_cndmask_b32_e32 v7, v8, v9, vcc_lo
	v_cmp_gt_f32_e32 vcc_lo, v4, v3
	v_cndmask_b32_e32 v3, v3, v4, vcc_lo
	v_cndmask_b32_e32 v7, v7, v10, vcc_lo
	v_add_nc_u32_e32 v4, 0x80, v0
	s_waitcnt lgkmcnt(1)
	v_cmp_gt_f32_e32 vcc_lo, v5, v3
	v_cndmask_b32_e32 v3, v3, v5, vcc_lo
	v_cndmask_b32_e32 v4, v7, v4, vcc_lo
	v_add_nc_u32_e32 v5, 0xa0, v0
	v_cmp_gt_f32_e32 vcc_lo, v6, v3
	v_cndmask_b32_e32 v3, v3, v6, vcc_lo
	v_cndmask_b32_e32 v4, v4, v5, vcc_lo
	v_add_nc_u32_e32 v6, 0xc0, v0
	s_waitcnt lgkmcnt(0)
	v_cmp_gt_f32_e32 vcc_lo, v1, v3
	v_cndmask_b32_e32 v1, v3, v1, vcc_lo
	v_add_nc_u32_e32 v3, 0xe0, v0
	v_cndmask_b32_e32 v4, v4, v6, vcc_lo
	v_add_nc_u32_e32 v0, s6, v0
	v_cmp_gt_f32_e32 vcc_lo, v2, v1
	v_cndmask_b32_e32 v5, v1, v2, vcc_lo
	v_cndmask_b32_e32 v1, v4, v3, vcc_lo
	v_lshlrev_b32_e32 v2, 2, v1
	v_ashrrev_i32_e32 v1, 31, v0
	ds_read_b32 v4, v2 offset:1024
	v_lshlrev_b64 v[0:1], 2, v[0:1]
	v_add_co_u32 v2, vcc_lo, s8, v0
	v_add_co_ci_u32_e64 v3, null, s9, v1, vcc_lo
	v_add_co_u32 v0, vcc_lo, s10, v0
	v_add_co_ci_u32_e64 v1, null, s11, v1, vcc_lo
	global_store_dword v[2:3], v5, off
	s_waitcnt lgkmcnt(0)
	global_store_dword v[0:1], v4, off
.LBB8_29:
	s_endpgm
	.section	.rodata,"a",@progbits
	.p2align	6, 0x0
	.amdhsa_kernel _Z6Match9PKfS0_PfPi
		.amdhsa_group_segment_fixed_size 32768
		.amdhsa_private_segment_fixed_size 0
		.amdhsa_kernarg_size 32
		.amdhsa_user_sgpr_count 6
		.amdhsa_user_sgpr_private_segment_buffer 1
		.amdhsa_user_sgpr_dispatch_ptr 0
		.amdhsa_user_sgpr_queue_ptr 0
		.amdhsa_user_sgpr_kernarg_segment_ptr 1
		.amdhsa_user_sgpr_dispatch_id 0
		.amdhsa_user_sgpr_flat_scratch_init 0
		.amdhsa_user_sgpr_private_segment_size 0
		.amdhsa_wavefront_size32 1
		.amdhsa_uses_dynamic_stack 0
		.amdhsa_system_sgpr_private_segment_wavefront_offset 0
		.amdhsa_system_sgpr_workgroup_id_x 1
		.amdhsa_system_sgpr_workgroup_id_y 0
		.amdhsa_system_sgpr_workgroup_id_z 0
		.amdhsa_system_sgpr_workgroup_info 0
		.amdhsa_system_vgpr_workitem_id 1
		.amdhsa_next_free_vgpr 42
		.amdhsa_next_free_sgpr 18
		.amdhsa_reserve_vcc 1
		.amdhsa_reserve_flat_scratch 0
		.amdhsa_float_round_mode_32 0
		.amdhsa_float_round_mode_16_64 0
		.amdhsa_float_denorm_mode_32 3
		.amdhsa_float_denorm_mode_16_64 3
		.amdhsa_dx10_clamp 1
		.amdhsa_ieee_mode 1
		.amdhsa_fp16_overflow 0
		.amdhsa_workgroup_processor_mode 1
		.amdhsa_memory_ordered 1
		.amdhsa_forward_progress 1
		.amdhsa_shared_vgpr_count 0
		.amdhsa_exception_fp_ieee_invalid_op 0
		.amdhsa_exception_fp_denorm_src 0
		.amdhsa_exception_fp_ieee_div_zero 0
		.amdhsa_exception_fp_ieee_overflow 0
		.amdhsa_exception_fp_ieee_underflow 0
		.amdhsa_exception_fp_ieee_inexact 0
		.amdhsa_exception_int_div_zero 0
	.end_amdhsa_kernel
	.text
.Lfunc_end8:
	.size	_Z6Match9PKfS0_PfPi, .Lfunc_end8-_Z6Match9PKfS0_PfPi
                                        ; -- End function
	.set _Z6Match9PKfS0_PfPi.num_vgpr, 42
	.set _Z6Match9PKfS0_PfPi.num_agpr, 0
	.set _Z6Match9PKfS0_PfPi.numbered_sgpr, 18
	.set _Z6Match9PKfS0_PfPi.num_named_barrier, 0
	.set _Z6Match9PKfS0_PfPi.private_seg_size, 0
	.set _Z6Match9PKfS0_PfPi.uses_vcc, 1
	.set _Z6Match9PKfS0_PfPi.uses_flat_scratch, 0
	.set _Z6Match9PKfS0_PfPi.has_dyn_sized_stack, 0
	.set _Z6Match9PKfS0_PfPi.has_recursion, 0
	.set _Z6Match9PKfS0_PfPi.has_indirect_call, 0
	.section	.AMDGPU.csdata,"",@progbits
; Kernel info:
; codeLenInByte = 2236
; TotalNumSgprs: 20
; NumVgprs: 42
; ScratchSize: 0
; MemoryBound: 0
; FloatMode: 240
; IeeeMode: 1
; LDSByteSize: 32768 bytes/workgroup (compile time only)
; SGPRBlocks: 0
; VGPRBlocks: 5
; NumSGPRsForWavesPerEU: 20
; NumVGPRsForWavesPerEU: 42
; Occupancy: 16
; WaveLimiterHint : 0
; COMPUTE_PGM_RSRC2:SCRATCH_EN: 0
; COMPUTE_PGM_RSRC2:USER_SGPR: 6
; COMPUTE_PGM_RSRC2:TRAP_HANDLER: 0
; COMPUTE_PGM_RSRC2:TGID_X_EN: 1
; COMPUTE_PGM_RSRC2:TGID_Y_EN: 0
; COMPUTE_PGM_RSRC2:TGID_Z_EN: 0
; COMPUTE_PGM_RSRC2:TIDIG_COMP_CNT: 1
	.text
	.protected	_Z7Match10PKfS0_PfPi    ; -- Begin function _Z7Match10PKfS0_PfPi
	.globl	_Z7Match10PKfS0_PfPi
	.p2align	8
	.type	_Z7Match10PKfS0_PfPi,@function
_Z7Match10PKfS0_PfPi:                   ; @_Z7Match10PKfS0_PfPi
; %bb.0:
	v_or_b32_e32 v2, v0, v1
	v_cmp_lt_u32_e32 vcc_lo, 31, v2
	v_lshlrev_b32_e32 v2, 5, v1
	s_and_saveexec_b32 s0, vcc_lo
	s_xor_b32 s0, exec_lo, s0
; %bb.1:
	v_lshlrev_b32_e32 v2, 5, v1
; %bb.2:
	s_or_saveexec_b32 s7, s0
	s_clause 0x1
	s_load_dwordx4 s[8:11], s[4:5], 0x8
	s_load_dwordx2 s[2:3], s[4:5], 0x18
	s_xor_b32 exec_lo, exec_lo, s7
	s_cbranch_execz .LBB9_6
; %bb.3:
	s_load_dwordx2 s[0:1], s[4:5], 0x0
	v_lshlrev_b32_e32 v3, 9, v1
	v_add_nc_u32_e32 v4, v1, v0
	v_lshl_add_u32 v5, s6, 10, v2
	v_mov_b32_e32 v6, v1
	s_mov_b32 s4, 0
	.p2align	6
.LBB9_4:                                ; =>This Inner Loop Header: Depth=1
	v_add_nc_u32_e32 v7, v0, v5
	v_and_b32_e32 v11, 31, v4
	v_add_nc_u32_e32 v12, 8, v6
	v_add_nc_u16 v4, v4, 8
	v_add_nc_u32_e32 v5, 0x100, v5
	v_ashrrev_i32_e32 v8, 31, v7
	v_lshl_add_u32 v11, v11, 4, v3
	v_add_nc_u32_e32 v3, 0x1000, v3
	v_lshlrev_b64 v[7:8], 4, v[7:8]
	s_waitcnt lgkmcnt(0)
	v_add_co_u32 v7, vcc_lo, s0, v7
	v_add_co_ci_u32_e64 v8, null, s1, v8, vcc_lo
	v_cmp_lt_u32_e32 vcc_lo, 23, v6
	v_mov_b32_e32 v6, v12
	global_load_dwordx4 v[7:10], v[7:8], off
	s_or_b32 s4, vcc_lo, s4
	s_waitcnt vmcnt(0)
	ds_write_b128 v11, v[7:10]
	s_andn2_b32 exec_lo, exec_lo, s4
	s_cbranch_execnz .LBB9_4
; %bb.5:
	s_or_b32 exec_lo, exec_lo, s4
.LBB9_6:
	s_or_b32 exec_lo, exec_lo, s7
	v_add_nc_u32_e32 v4, v2, v0
	v_and_b32_e32 v20, 7, v0
	v_mov_b32_e32 v14, 0
	v_and_b32_e32 v19, 15, v0
	v_mov_b32_e32 v27, -1
	v_lshrrev_b32_e32 v21, 3, v4
	v_and_or_b32 v5, 0xfff8, v4, v20
	v_lshrrev_b32_e32 v22, 4, v4
	v_mov_b32_e32 v28, 0
	v_mov_b32_e32 v29, 0
	v_lshl_or_b32 v13, v21, 5, v20
	v_cmp_gt_u32_e64 s0, 0x80, v4
	v_lshlrev_b32_e32 v23, 9, v19
	v_lshl_add_u32 v24, v5, 4, 0x4000
	v_lshl_add_u32 v25, v22, 9, 0x4000
	v_lshlrev_b64 v[2:3], 4, v[13:14]
	v_lshlrev_b32_e32 v26, 2, v22
	v_mov_b32_e32 v30, -1
	s_mov_b32 s4, 0
	s_waitcnt lgkmcnt(0)
	v_add_co_u32 v2, vcc_lo, s8, v2
	v_add_co_ci_u32_e64 v3, null, s9, v3, vcc_lo
	v_add_co_u32 v15, vcc_lo, 0x80, v2
	v_add_co_ci_u32_e64 v16, null, 0, v3, vcc_lo
                                        ; implicit-def: $vgpr2_vgpr3_vgpr4_vgpr5
.LBB9_7:                                ; =>This Loop Header: Depth=1
                                        ;     Child Loop BB9_9 Depth 2
	v_add_nc_u32_e32 v6, s4, v21
	v_mov_b32_e32 v18, v16
	v_mov_b32_e32 v17, v15
	;; [unrolled: 1-line block ×4, first 2 shown]
	v_lshl_or_b32 v13, v6, 5, v20
	v_mov_b32_e32 v33, 0
	v_mov_b32_e32 v34, 0
	;; [unrolled: 1-line block ×4, first 2 shown]
	v_lshlrev_b64 v[6:7], 4, v[13:14]
	v_mov_b32_e32 v37, 0
	v_mov_b32_e32 v38, 0
	s_mov_b32 s1, 0
	v_add_co_u32 v6, vcc_lo, s8, v6
	v_add_co_ci_u32_e64 v7, null, s9, v7, vcc_lo
	global_load_dwordx4 v[6:9], v[6:7], off
	s_waitcnt vmcnt(0)
	ds_write_b128 v24, v[6:9]
	s_waitcnt lgkmcnt(0)
	s_barrier
	buffer_gl0_inv
	s_branch .LBB9_9
.LBB9_8:                                ;   in Loop: Header=BB9_9 Depth=2
	v_add_co_u32 v17, vcc_lo, 0x80, v17
	v_add_co_ci_u32_e64 v18, null, 0, v18, vcc_lo
	s_and_b32 vcc_lo, exec_lo, s5
	s_add_i32 s1, s1, 8
	s_cbranch_vccnz .LBB9_15
.LBB9_9:                                ;   Parent Loop BB9_7 Depth=1
                                        ; =>  This Inner Loop Header: Depth=2
	s_cmp_lt_u32 s1, 24
	s_cselect_b32 s7, -1, 0
	s_cmp_gt_u32 s1, 23
	s_cselect_b32 s5, -1, 0
	s_and_b32 vcc_lo, exec_lo, s5
	s_cbranch_vccnz .LBB9_11
; %bb.10:                               ;   in Loop: Header=BB9_9 Depth=2
	global_load_dwordx4 v[2:5], v[17:18], off
.LBB9_11:                               ;   in Loop: Header=BB9_9 Depth=2
	s_and_saveexec_b32 s12, s0
	s_cbranch_execz .LBB9_13
; %bb.12:                               ;   in Loop: Header=BB9_9 Depth=2
	v_add_nc_u32_e32 v39, s1, v19
	v_and_b32_e32 v6, 31, v39
	v_lshl_add_u32 v7, v6, 4, v23
	v_xor_b32_e32 v6, 16, v6
	ds_read_b128 v[40:43], v7
	v_lshl_add_u32 v6, v6, 4, v23
	ds_read_b128 v[44:47], v6 offset:8192
	ds_read_b128 v[48:51], v25
	ds_read_b128 v[52:55], v25 offset:16
	ds_read_b128 v[10:13], v25 offset:32
	;; [unrolled: 1-line block ×3, first 2 shown]
	s_waitcnt lgkmcnt(3)
	v_fmac_f32_e32 v38, v48, v40
	v_fmac_f32_e32 v37, v48, v44
	v_fmac_f32_e32 v38, v49, v41
	v_fmac_f32_e32 v37, v49, v45
	v_fmac_f32_e32 v38, v50, v42
	v_fmac_f32_e32 v37, v50, v46
	v_fmac_f32_e32 v38, v51, v43
	v_fmac_f32_e32 v37, v51, v47
	ds_read_b128 v[48:51], v25 offset:128
	s_waitcnt lgkmcnt(0)
	v_fmac_f32_e32 v36, v48, v40
	v_fmac_f32_e32 v35, v48, v44
	v_fmac_f32_e32 v36, v49, v41
	v_fmac_f32_e32 v35, v49, v45
	v_fmac_f32_e32 v36, v50, v42
	v_fmac_f32_e32 v35, v50, v46
	v_fmac_f32_e32 v36, v51, v43
	v_fmac_f32_e32 v35, v51, v47
	ds_read_b128 v[48:51], v25 offset:256
	;; [unrolled: 10-line block ×3, first 2 shown]
	s_waitcnt lgkmcnt(0)
	v_fmac_f32_e32 v32, v48, v40
	v_fmac_f32_e32 v31, v48, v44
	v_add_nc_u32_e32 v40, 1, v39
	v_add_nc_u32_e32 v44, 17, v39
	v_fmac_f32_e32 v32, v49, v41
	v_fmac_f32_e32 v31, v49, v45
	v_and_b32_e32 v40, 31, v40
	v_and_b32_e32 v44, 31, v44
	v_fmac_f32_e32 v32, v50, v42
	v_fmac_f32_e32 v31, v50, v46
	v_lshl_add_u32 v40, v40, 4, v23
	v_lshl_add_u32 v44, v44, 4, v23
	v_fmac_f32_e32 v32, v51, v43
	v_fmac_f32_e32 v31, v51, v47
	ds_read_b128 v[40:43], v40
	ds_read_b128 v[48:51], v25 offset:144
	ds_read_b128 v[44:47], v44 offset:8192
	s_waitcnt lgkmcnt(2)
	v_fmac_f32_e32 v38, v52, v40
	s_waitcnt lgkmcnt(1)
	v_fmac_f32_e32 v36, v48, v40
	;; [unrolled: 2-line block ×3, first 2 shown]
	v_fmac_f32_e32 v37, v52, v44
	v_fmac_f32_e32 v38, v53, v41
	;; [unrolled: 1-line block ×12, first 2 shown]
	ds_read_b128 v[48:51], v25 offset:272
	v_fmac_f32_e32 v37, v55, v47
	s_waitcnt lgkmcnt(0)
	v_fmac_f32_e32 v34, v48, v40
	v_fmac_f32_e32 v33, v48, v44
	;; [unrolled: 1-line block ×8, first 2 shown]
	ds_read_b128 v[48:51], v25 offset:400
	s_waitcnt lgkmcnt(0)
	v_fmac_f32_e32 v32, v48, v40
	v_fmac_f32_e32 v31, v48, v44
	v_add_nc_u32_e32 v40, 2, v39
	v_add_nc_u32_e32 v44, 18, v39
	v_fmac_f32_e32 v32, v49, v41
	v_fmac_f32_e32 v31, v49, v45
	v_and_b32_e32 v40, 31, v40
	v_and_b32_e32 v44, 31, v44
	v_fmac_f32_e32 v32, v50, v42
	v_fmac_f32_e32 v31, v50, v46
	v_lshl_add_u32 v40, v40, 4, v23
	v_lshl_add_u32 v44, v44, 4, v23
	v_fmac_f32_e32 v32, v51, v43
	v_fmac_f32_e32 v31, v51, v47
	ds_read_b128 v[40:43], v40
	ds_read_b128 v[44:47], v44 offset:8192
	s_waitcnt lgkmcnt(1)
	v_fmac_f32_e32 v38, v10, v40
	s_waitcnt lgkmcnt(0)
	v_fmac_f32_e32 v37, v10, v44
	v_fmac_f32_e32 v38, v11, v41
	v_fmac_f32_e32 v37, v11, v45
	v_fmac_f32_e32 v38, v12, v42
	v_fmac_f32_e32 v37, v12, v46
	v_fmac_f32_e32 v38, v13, v43
	v_fmac_f32_e32 v37, v13, v47
	ds_read_b128 v[10:13], v25 offset:160
	s_waitcnt lgkmcnt(0)
	v_fmac_f32_e32 v36, v10, v40
	v_fmac_f32_e32 v35, v10, v44
	v_fmac_f32_e32 v36, v11, v41
	v_fmac_f32_e32 v35, v11, v45
	v_fmac_f32_e32 v36, v12, v42
	v_fmac_f32_e32 v35, v12, v46
	v_fmac_f32_e32 v36, v13, v43
	v_fmac_f32_e32 v35, v13, v47
	ds_read_b128 v[10:13], v25 offset:288
	s_waitcnt lgkmcnt(0)
	v_fmac_f32_e32 v34, v10, v40
	;; [unrolled: 10-line block ×3, first 2 shown]
	v_fmac_f32_e32 v31, v10, v44
	v_add_nc_u32_e32 v10, 3, v39
	v_add_nc_u32_e32 v40, 19, v39
	v_fmac_f32_e32 v32, v11, v41
	v_fmac_f32_e32 v31, v11, v45
	v_and_b32_e32 v10, 31, v10
	v_and_b32_e32 v40, 31, v40
	v_fmac_f32_e32 v32, v12, v42
	v_fmac_f32_e32 v31, v12, v46
	v_lshl_add_u32 v10, v10, 4, v23
	v_lshl_add_u32 v40, v40, 4, v23
	v_fmac_f32_e32 v32, v13, v43
	v_fmac_f32_e32 v31, v13, v47
	ds_read_b128 v[10:13], v10
	ds_read_b128 v[40:43], v40 offset:8192
	s_waitcnt lgkmcnt(1)
	v_fmac_f32_e32 v38, v6, v10
	s_waitcnt lgkmcnt(0)
	v_fmac_f32_e32 v37, v6, v40
	v_fmac_f32_e32 v38, v7, v11
	v_fmac_f32_e32 v37, v7, v41
	v_fmac_f32_e32 v38, v8, v12
	v_fmac_f32_e32 v37, v8, v42
	v_fmac_f32_e32 v38, v9, v13
	v_fmac_f32_e32 v37, v9, v43
	ds_read_b128 v[6:9], v25 offset:176
	s_waitcnt lgkmcnt(0)
	v_fmac_f32_e32 v36, v6, v10
	v_fmac_f32_e32 v35, v6, v40
	v_fmac_f32_e32 v36, v7, v11
	v_fmac_f32_e32 v35, v7, v41
	v_fmac_f32_e32 v36, v8, v12
	v_fmac_f32_e32 v35, v8, v42
	v_fmac_f32_e32 v36, v9, v13
	v_fmac_f32_e32 v35, v9, v43
	ds_read_b128 v[6:9], v25 offset:304
	s_waitcnt lgkmcnt(0)
	v_fmac_f32_e32 v34, v6, v10
	v_fmac_f32_e32 v33, v6, v40
	v_fmac_f32_e32 v34, v7, v11
	v_fmac_f32_e32 v33, v7, v41
	v_fmac_f32_e32 v34, v8, v12
	v_fmac_f32_e32 v33, v8, v42
	v_fmac_f32_e32 v34, v9, v13
	v_fmac_f32_e32 v33, v9, v43
	ds_read_b128 v[6:9], v25 offset:432
	s_waitcnt lgkmcnt(0)
	v_fmac_f32_e32 v32, v6, v10
	v_fmac_f32_e32 v31, v6, v40
	v_add_nc_u32_e32 v6, 4, v39
	v_add_nc_u32_e32 v10, 20, v39
	v_fmac_f32_e32 v32, v7, v11
	v_fmac_f32_e32 v31, v7, v41
	v_and_b32_e32 v6, 31, v6
	v_and_b32_e32 v10, 31, v10
	v_fmac_f32_e32 v32, v8, v12
	v_fmac_f32_e32 v31, v8, v42
	v_lshl_add_u32 v6, v6, 4, v23
	v_lshl_add_u32 v10, v10, 4, v23
	v_fmac_f32_e32 v32, v9, v13
	v_fmac_f32_e32 v31, v9, v43
	ds_read_b128 v[6:9], v6
	ds_read_b128 v[10:13], v10 offset:8192
	ds_read_b128 v[40:43], v25 offset:64
	s_waitcnt lgkmcnt(0)
	v_fmac_f32_e32 v38, v40, v6
	v_fmac_f32_e32 v37, v40, v10
	v_fmac_f32_e32 v38, v41, v7
	v_fmac_f32_e32 v37, v41, v11
	v_fmac_f32_e32 v38, v42, v8
	v_fmac_f32_e32 v37, v42, v12
	v_fmac_f32_e32 v38, v43, v9
	v_fmac_f32_e32 v37, v43, v13
	ds_read_b128 v[40:43], v25 offset:192
	s_waitcnt lgkmcnt(0)
	v_fmac_f32_e32 v36, v40, v6
	v_fmac_f32_e32 v35, v40, v10
	v_fmac_f32_e32 v36, v41, v7
	v_fmac_f32_e32 v35, v41, v11
	v_fmac_f32_e32 v36, v42, v8
	v_fmac_f32_e32 v35, v42, v12
	v_fmac_f32_e32 v36, v43, v9
	v_fmac_f32_e32 v35, v43, v13
	ds_read_b128 v[40:43], v25 offset:320
	s_waitcnt lgkmcnt(0)
	v_fmac_f32_e32 v34, v40, v6
	v_fmac_f32_e32 v33, v40, v10
	v_fmac_f32_e32 v34, v41, v7
	v_fmac_f32_e32 v33, v41, v11
	v_fmac_f32_e32 v34, v42, v8
	v_fmac_f32_e32 v33, v42, v12
	v_fmac_f32_e32 v34, v43, v9
	v_fmac_f32_e32 v33, v43, v13
	ds_read_b128 v[40:43], v25 offset:448
	s_waitcnt lgkmcnt(0)
	v_fmac_f32_e32 v32, v40, v6
	v_fmac_f32_e32 v31, v40, v10
	v_add_nc_u32_e32 v6, 5, v39
	v_add_nc_u32_e32 v10, 21, v39
	v_fmac_f32_e32 v32, v41, v7
	v_fmac_f32_e32 v31, v41, v11
	v_and_b32_e32 v6, 31, v6
	v_and_b32_e32 v10, 31, v10
	v_fmac_f32_e32 v32, v42, v8
	v_fmac_f32_e32 v31, v42, v12
	v_lshl_add_u32 v6, v6, 4, v23
	v_lshl_add_u32 v10, v10, 4, v23
	v_fmac_f32_e32 v32, v43, v9
	v_fmac_f32_e32 v31, v43, v13
	ds_read_b128 v[6:9], v6
	ds_read_b128 v[10:13], v10 offset:8192
	ds_read_b128 v[40:43], v25 offset:80
	s_waitcnt lgkmcnt(0)
	v_fmac_f32_e32 v38, v40, v6
	;; [unrolled: 48-line block ×3, first 2 shown]
	v_fmac_f32_e32 v37, v40, v10
	v_fmac_f32_e32 v38, v41, v7
	v_fmac_f32_e32 v37, v41, v11
	v_fmac_f32_e32 v38, v42, v8
	v_fmac_f32_e32 v37, v42, v12
	v_fmac_f32_e32 v38, v43, v9
	v_fmac_f32_e32 v37, v43, v13
	ds_read_b128 v[40:43], v25 offset:224
	s_waitcnt lgkmcnt(0)
	v_fmac_f32_e32 v36, v40, v6
	v_fmac_f32_e32 v35, v40, v10
	v_fmac_f32_e32 v36, v41, v7
	v_fmac_f32_e32 v35, v41, v11
	v_fmac_f32_e32 v36, v42, v8
	v_fmac_f32_e32 v35, v42, v12
	v_fmac_f32_e32 v36, v43, v9
	v_fmac_f32_e32 v35, v43, v13
	ds_read_b128 v[40:43], v25 offset:352
	s_waitcnt lgkmcnt(0)
	v_fmac_f32_e32 v34, v40, v6
	;; [unrolled: 10-line block ×3, first 2 shown]
	v_fmac_f32_e32 v31, v40, v10
	v_add_nc_u32_e32 v6, 7, v39
	v_fmac_f32_e32 v32, v41, v7
	v_fmac_f32_e32 v31, v41, v11
	v_and_b32_e32 v6, 31, v6
	v_fmac_f32_e32 v32, v42, v8
	v_fmac_f32_e32 v31, v42, v12
	v_lshl_add_u32 v6, v6, 4, v23
	v_fmac_f32_e32 v32, v43, v9
	v_fmac_f32_e32 v31, v43, v13
	ds_read_b128 v[10:13], v6
	v_add_nc_u32_e32 v6, 23, v39
	v_and_b32_e32 v6, 31, v6
	v_lshl_add_u32 v6, v6, 4, v23
	ds_read_b128 v[6:9], v6 offset:8192
	ds_read_b128 v[39:42], v25 offset:112
	s_waitcnt lgkmcnt(0)
	v_fmac_f32_e32 v38, v39, v10
	v_fmac_f32_e32 v37, v39, v6
	v_fmac_f32_e32 v38, v40, v11
	v_fmac_f32_e32 v37, v40, v7
	v_fmac_f32_e32 v38, v41, v12
	v_fmac_f32_e32 v37, v41, v8
	v_fmac_f32_e32 v38, v42, v13
	v_fmac_f32_e32 v37, v42, v9
	ds_read_b128 v[39:42], v25 offset:240
	s_waitcnt lgkmcnt(0)
	v_fmac_f32_e32 v36, v39, v10
	v_fmac_f32_e32 v35, v39, v6
	v_fmac_f32_e32 v36, v40, v11
	v_fmac_f32_e32 v35, v40, v7
	v_fmac_f32_e32 v36, v41, v12
	v_fmac_f32_e32 v35, v41, v8
	v_fmac_f32_e32 v36, v42, v13
	v_fmac_f32_e32 v35, v42, v9
	;; [unrolled: 10-line block ×4, first 2 shown]
.LBB9_13:                               ;   in Loop: Header=BB9_9 Depth=2
	s_or_b32 exec_lo, exec_lo, s12
	s_andn2_b32 vcc_lo, exec_lo, s7
	s_waitcnt vmcnt(0)
	s_barrier
	buffer_gl0_inv
	s_cbranch_vccnz .LBB9_8
; %bb.14:                               ;   in Loop: Header=BB9_9 Depth=2
	ds_write_b128 v24, v[2:5]
	s_waitcnt lgkmcnt(0)
	s_barrier
	buffer_gl0_inv
	s_branch .LBB9_8
.LBB9_15:                               ;   in Loop: Header=BB9_7 Depth=1
	v_cmp_gt_f32_e32 vcc_lo, v38, v28
	v_cmp_gt_f32_e64 s1, v37, v29
	v_add_nc_u32_e32 v6, s4, v26
	s_barrier
	v_cndmask_b32_e32 v8, v28, v38, vcc_lo
	v_cndmask_b32_e64 v10, v29, v37, s1
	v_cndmask_b32_e32 v7, v27, v6, vcc_lo
	v_cndmask_b32_e64 v9, v30, v6, s1
	v_or_b32_e32 v11, 1, v6
	v_cmp_gt_f32_e32 vcc_lo, v36, v8
	v_cmp_gt_f32_e64 s1, v35, v10
	buffer_gl0_inv
	v_cndmask_b32_e32 v8, v8, v36, vcc_lo
	v_cndmask_b32_e64 v10, v10, v35, s1
	v_cndmask_b32_e32 v7, v7, v11, vcc_lo
	v_cndmask_b32_e64 v9, v9, v11, s1
	v_or_b32_e32 v11, 2, v6
	v_cmp_gt_f32_e32 vcc_lo, v34, v8
	v_cmp_gt_f32_e64 s1, v33, v10
	v_or_b32_e32 v6, 3, v6
	v_cndmask_b32_e32 v8, v8, v34, vcc_lo
	v_cndmask_b32_e64 v10, v10, v33, s1
	v_cndmask_b32_e32 v7, v7, v11, vcc_lo
	v_cndmask_b32_e64 v9, v9, v11, s1
	v_cmp_gt_f32_e32 vcc_lo, v32, v8
	v_cmp_gt_f32_e64 s1, v31, v10
	v_cndmask_b32_e32 v27, v7, v6, vcc_lo
	v_cndmask_b32_e32 v28, v8, v32, vcc_lo
	v_add_co_u32 v15, vcc_lo, 0x4000, v15
	v_cndmask_b32_e64 v30, v9, v6, s1
	v_cndmask_b32_e64 v29, v10, v31, s1
	v_add_co_ci_u32_e64 v16, null, 0, v16, vcc_lo
	s_add_i32 s1, s4, 32
	s_cmpk_gt_u32 s4, 0x3fdf
	s_cbranch_scc1 .LBB9_17
; %bb.16:                               ;   in Loop: Header=BB9_7 Depth=1
	s_mov_b32 s4, s1
	s_branch .LBB9_7
.LBB9_17:
	s_and_saveexec_b32 s1, s0
	s_cbranch_execz .LBB9_19
; %bb.18:
	v_lshlrev_b32_e32 v2, 2, v19
	v_lshl_or_b32 v2, v22, 7, v2
	v_add_nc_u32_e32 v3, 0x400, v2
	ds_write2_b32 v2, v28, v29 offset1:16
	ds_write2_b32 v3, v27, v30 offset1:16
.LBB9_19:
	s_or_b32 exec_lo, exec_lo, s1
	s_waitcnt lgkmcnt(0)
	s_barrier
	buffer_gl0_inv
	s_mov_b32 s0, exec_lo
	v_cmpx_eq_u32_e32 0, v1
	s_cbranch_execz .LBB9_21
; %bb.20:
	v_lshlrev_b32_e32 v7, 2, v0
	v_add_nc_u32_e32 v8, 32, v0
	v_add_nc_u32_e32 v9, 64, v0
	;; [unrolled: 1-line block ×3, first 2 shown]
	ds_read2_b32 v[1:2], v7 offset1:32
	ds_read2_b32 v[3:4], v7 offset0:64 offset1:96
	ds_read2_b32 v[5:6], v7 offset0:128 offset1:160
	s_waitcnt lgkmcnt(2)
	v_cmp_gt_f32_e32 vcc_lo, v2, v1
	v_cndmask_b32_e32 v1, v1, v2, vcc_lo
	v_cndmask_b32_e32 v8, v0, v8, vcc_lo
	s_waitcnt lgkmcnt(1)
	v_cmp_gt_f32_e32 vcc_lo, v3, v1
	v_cndmask_b32_e32 v3, v1, v3, vcc_lo
	ds_read2_b32 v[1:2], v7 offset0:192 offset1:224
	v_cndmask_b32_e32 v7, v8, v9, vcc_lo
	v_cmp_gt_f32_e32 vcc_lo, v4, v3
	v_cndmask_b32_e32 v3, v3, v4, vcc_lo
	v_cndmask_b32_e32 v7, v7, v10, vcc_lo
	v_add_nc_u32_e32 v4, 0x80, v0
	s_waitcnt lgkmcnt(1)
	v_cmp_gt_f32_e32 vcc_lo, v5, v3
	v_cndmask_b32_e32 v3, v3, v5, vcc_lo
	v_cndmask_b32_e32 v4, v7, v4, vcc_lo
	v_add_nc_u32_e32 v5, 0xa0, v0
	v_cmp_gt_f32_e32 vcc_lo, v6, v3
	v_cndmask_b32_e32 v3, v3, v6, vcc_lo
	v_cndmask_b32_e32 v4, v4, v5, vcc_lo
	v_add_nc_u32_e32 v6, 0xc0, v0
	s_waitcnt lgkmcnt(0)
	v_cmp_gt_f32_e32 vcc_lo, v1, v3
	v_cndmask_b32_e32 v1, v3, v1, vcc_lo
	v_add_nc_u32_e32 v3, 0xe0, v0
	v_cndmask_b32_e32 v4, v4, v6, vcc_lo
	v_lshl_add_u32 v0, s6, 5, v0
	v_cmp_gt_f32_e32 vcc_lo, v2, v1
	v_cndmask_b32_e32 v5, v1, v2, vcc_lo
	v_cndmask_b32_e32 v1, v4, v3, vcc_lo
	v_lshlrev_b32_e32 v2, 2, v1
	v_ashrrev_i32_e32 v1, 31, v0
	ds_read_b32 v4, v2 offset:1024
	v_lshlrev_b64 v[0:1], 2, v[0:1]
	v_add_co_u32 v2, vcc_lo, s10, v0
	v_add_co_ci_u32_e64 v3, null, s11, v1, vcc_lo
	v_add_co_u32 v0, vcc_lo, s2, v0
	v_add_co_ci_u32_e64 v1, null, s3, v1, vcc_lo
	global_store_dword v[2:3], v5, off
	s_waitcnt lgkmcnt(0)
	global_store_dword v[0:1], v4, off
.LBB9_21:
	s_endpgm
	.section	.rodata,"a",@progbits
	.p2align	6, 0x0
	.amdhsa_kernel _Z7Match10PKfS0_PfPi
		.amdhsa_group_segment_fixed_size 20480
		.amdhsa_private_segment_fixed_size 0
		.amdhsa_kernarg_size 32
		.amdhsa_user_sgpr_count 6
		.amdhsa_user_sgpr_private_segment_buffer 1
		.amdhsa_user_sgpr_dispatch_ptr 0
		.amdhsa_user_sgpr_queue_ptr 0
		.amdhsa_user_sgpr_kernarg_segment_ptr 1
		.amdhsa_user_sgpr_dispatch_id 0
		.amdhsa_user_sgpr_flat_scratch_init 0
		.amdhsa_user_sgpr_private_segment_size 0
		.amdhsa_wavefront_size32 1
		.amdhsa_uses_dynamic_stack 0
		.amdhsa_system_sgpr_private_segment_wavefront_offset 0
		.amdhsa_system_sgpr_workgroup_id_x 1
		.amdhsa_system_sgpr_workgroup_id_y 0
		.amdhsa_system_sgpr_workgroup_id_z 0
		.amdhsa_system_sgpr_workgroup_info 0
		.amdhsa_system_vgpr_workitem_id 1
		.amdhsa_next_free_vgpr 56
		.amdhsa_next_free_sgpr 13
		.amdhsa_reserve_vcc 1
		.amdhsa_reserve_flat_scratch 0
		.amdhsa_float_round_mode_32 0
		.amdhsa_float_round_mode_16_64 0
		.amdhsa_float_denorm_mode_32 3
		.amdhsa_float_denorm_mode_16_64 3
		.amdhsa_dx10_clamp 1
		.amdhsa_ieee_mode 1
		.amdhsa_fp16_overflow 0
		.amdhsa_workgroup_processor_mode 1
		.amdhsa_memory_ordered 1
		.amdhsa_forward_progress 1
		.amdhsa_shared_vgpr_count 0
		.amdhsa_exception_fp_ieee_invalid_op 0
		.amdhsa_exception_fp_denorm_src 0
		.amdhsa_exception_fp_ieee_div_zero 0
		.amdhsa_exception_fp_ieee_overflow 0
		.amdhsa_exception_fp_ieee_underflow 0
		.amdhsa_exception_fp_ieee_inexact 0
		.amdhsa_exception_int_div_zero 0
	.end_amdhsa_kernel
	.text
.Lfunc_end9:
	.size	_Z7Match10PKfS0_PfPi, .Lfunc_end9-_Z7Match10PKfS0_PfPi
                                        ; -- End function
	.set _Z7Match10PKfS0_PfPi.num_vgpr, 56
	.set _Z7Match10PKfS0_PfPi.num_agpr, 0
	.set _Z7Match10PKfS0_PfPi.numbered_sgpr, 13
	.set _Z7Match10PKfS0_PfPi.num_named_barrier, 0
	.set _Z7Match10PKfS0_PfPi.private_seg_size, 0
	.set _Z7Match10PKfS0_PfPi.uses_vcc, 1
	.set _Z7Match10PKfS0_PfPi.uses_flat_scratch, 0
	.set _Z7Match10PKfS0_PfPi.has_dyn_sized_stack, 0
	.set _Z7Match10PKfS0_PfPi.has_recursion, 0
	.set _Z7Match10PKfS0_PfPi.has_indirect_call, 0
	.section	.AMDGPU.csdata,"",@progbits
; Kernel info:
; codeLenInByte = 3016
; TotalNumSgprs: 15
; NumVgprs: 56
; ScratchSize: 0
; MemoryBound: 0
; FloatMode: 240
; IeeeMode: 1
; LDSByteSize: 20480 bytes/workgroup (compile time only)
; SGPRBlocks: 0
; VGPRBlocks: 6
; NumSGPRsForWavesPerEU: 15
; NumVGPRsForWavesPerEU: 56
; Occupancy: 16
; WaveLimiterHint : 0
; COMPUTE_PGM_RSRC2:SCRATCH_EN: 0
; COMPUTE_PGM_RSRC2:USER_SGPR: 6
; COMPUTE_PGM_RSRC2:TRAP_HANDLER: 0
; COMPUTE_PGM_RSRC2:TGID_X_EN: 1
; COMPUTE_PGM_RSRC2:TGID_Y_EN: 0
; COMPUTE_PGM_RSRC2:TGID_Z_EN: 0
; COMPUTE_PGM_RSRC2:TIDIG_COMP_CNT: 1
	.text
	.p2alignl 6, 3214868480
	.fill 48, 4, 3214868480
	.section	.AMDGPU.gpr_maximums,"",@progbits
	.set amdgpu.max_num_vgpr, 0
	.set amdgpu.max_num_agpr, 0
	.set amdgpu.max_num_sgpr, 0
	.text
	.type	__hip_cuid_4228f9645e2a5d70,@object ; @__hip_cuid_4228f9645e2a5d70
	.section	.bss,"aw",@nobits
	.globl	__hip_cuid_4228f9645e2a5d70
__hip_cuid_4228f9645e2a5d70:
	.byte	0                               ; 0x0
	.size	__hip_cuid_4228f9645e2a5d70, 1

	.ident	"AMD clang version 22.0.0git (https://github.com/RadeonOpenCompute/llvm-project roc-7.2.4 26084 f58b06dce1f9c15707c5f808fd002e18c2accf7e)"
	.section	".note.GNU-stack","",@progbits
	.addrsig
	.addrsig_sym __hip_cuid_4228f9645e2a5d70
	.amdgpu_metadata
---
amdhsa.kernels:
  - .args:
      - .actual_access:  read_only
        .address_space:  global
        .offset:         0
        .size:           8
        .value_kind:     global_buffer
      - .actual_access:  read_only
        .address_space:  global
        .offset:         8
        .size:           8
        .value_kind:     global_buffer
      - .actual_access:  write_only
        .address_space:  global
        .offset:         16
        .size:           8
        .value_kind:     global_buffer
      - .actual_access:  write_only
        .address_space:  global
        .offset:         24
        .size:           8
        .value_kind:     global_buffer
    .group_segment_fixed_size: 0
    .kernarg_segment_align: 8
    .kernarg_segment_size: 32
    .language:       OpenCL C
    .language_version:
      - 2
      - 0
    .max_flat_workgroup_size: 1024
    .name:           _Z6Match1PKfS0_PfPi
    .private_segment_fixed_size: 0
    .sgpr_count:     22
    .sgpr_spill_count: 0
    .symbol:         _Z6Match1PKfS0_PfPi.kd
    .uniform_work_group_size: 1
    .uses_dynamic_stack: false
    .vgpr_count:     14
    .vgpr_spill_count: 0
    .wavefront_size: 32
    .workgroup_processor_mode: 1
  - .args:
      - .actual_access:  read_only
        .address_space:  global
        .offset:         0
        .size:           8
        .value_kind:     global_buffer
      - .actual_access:  read_only
        .address_space:  global
        .offset:         8
        .size:           8
        .value_kind:     global_buffer
      - .actual_access:  write_only
        .address_space:  global
        .offset:         16
        .size:           8
        .value_kind:     global_buffer
      - .actual_access:  write_only
        .address_space:  global
        .offset:         24
        .size:           8
        .value_kind:     global_buffer
    .group_segment_fixed_size: 17408
    .kernarg_segment_align: 8
    .kernarg_segment_size: 32
    .language:       OpenCL C
    .language_version:
      - 2
      - 0
    .max_flat_workgroup_size: 1024
    .name:           _Z6Match2PKfS0_PfPi
    .private_segment_fixed_size: 0
    .sgpr_count:     16
    .sgpr_spill_count: 0
    .symbol:         _Z6Match2PKfS0_PfPi.kd
    .uniform_work_group_size: 1
    .uses_dynamic_stack: false
    .vgpr_count:     30
    .vgpr_spill_count: 0
    .wavefront_size: 32
    .workgroup_processor_mode: 1
  - .args:
      - .actual_access:  read_only
        .address_space:  global
        .offset:         0
        .size:           8
        .value_kind:     global_buffer
      - .actual_access:  read_only
        .address_space:  global
        .offset:         8
        .size:           8
        .value_kind:     global_buffer
      - .actual_access:  write_only
        .address_space:  global
        .offset:         16
        .size:           8
        .value_kind:     global_buffer
      - .actual_access:  write_only
        .address_space:  global
        .offset:         24
        .size:           8
        .value_kind:     global_buffer
    .group_segment_fixed_size: 17472
    .kernarg_segment_align: 8
    .kernarg_segment_size: 32
    .language:       OpenCL C
    .language_version:
      - 2
      - 0
    .max_flat_workgroup_size: 1024
    .name:           _Z6Match3PKfS0_PfPi
    .private_segment_fixed_size: 0
    .sgpr_count:     16
    .sgpr_spill_count: 0
    .symbol:         _Z6Match3PKfS0_PfPi.kd
    .uniform_work_group_size: 1
    .uses_dynamic_stack: false
    .vgpr_count:     30
    .vgpr_spill_count: 0
    .wavefront_size: 32
    .workgroup_processor_mode: 1
  - .args:
      - .actual_access:  read_only
        .address_space:  global
        .offset:         0
        .size:           8
        .value_kind:     global_buffer
      - .actual_access:  read_only
        .address_space:  global
        .offset:         8
        .size:           8
        .value_kind:     global_buffer
      - .actual_access:  write_only
        .address_space:  global
        .offset:         16
        .size:           8
        .value_kind:     global_buffer
      - .actual_access:  write_only
        .address_space:  global
        .offset:         24
        .size:           8
        .value_kind:     global_buffer
    .group_segment_fixed_size: 17664
    .kernarg_segment_align: 8
    .kernarg_segment_size: 32
    .language:       OpenCL C
    .language_version:
      - 2
      - 0
    .max_flat_workgroup_size: 1024
    .name:           _Z6Match4PKfS0_PfPi
    .private_segment_fixed_size: 0
    .sgpr_count:     14
    .sgpr_spill_count: 0
    .symbol:         _Z6Match4PKfS0_PfPi.kd
    .uniform_work_group_size: 1
    .uses_dynamic_stack: false
    .vgpr_count:     29
    .vgpr_spill_count: 0
    .wavefront_size: 32
    .workgroup_processor_mode: 1
  - .args:
      - .actual_access:  read_only
        .address_space:  global
        .offset:         0
        .size:           8
        .value_kind:     global_buffer
      - .actual_access:  read_only
        .address_space:  global
        .offset:         8
        .size:           8
        .value_kind:     global_buffer
      - .actual_access:  write_only
        .address_space:  global
        .offset:         16
        .size:           8
        .value_kind:     global_buffer
      - .actual_access:  write_only
        .address_space:  global
        .offset:         24
        .size:           8
        .value_kind:     global_buffer
    .group_segment_fixed_size: 17664
    .kernarg_segment_align: 8
    .kernarg_segment_size: 32
    .language:       OpenCL C
    .language_version:
      - 2
      - 0
    .max_flat_workgroup_size: 1024
    .name:           _Z6Match5PKfS0_PfPi
    .private_segment_fixed_size: 0
    .sgpr_count:     16
    .sgpr_spill_count: 0
    .symbol:         _Z6Match5PKfS0_PfPi.kd
    .uniform_work_group_size: 1
    .uses_dynamic_stack: false
    .vgpr_count:     55
    .vgpr_spill_count: 0
    .wavefront_size: 32
    .workgroup_processor_mode: 1
  - .args:
      - .actual_access:  read_only
        .address_space:  global
        .offset:         0
        .size:           8
        .value_kind:     global_buffer
      - .actual_access:  read_only
        .address_space:  global
        .offset:         8
        .size:           8
        .value_kind:     global_buffer
      - .actual_access:  write_only
        .address_space:  global
        .offset:         16
        .size:           8
        .value_kind:     global_buffer
      - .actual_access:  write_only
        .address_space:  global
        .offset:         24
        .size:           8
        .value_kind:     global_buffer
    .group_segment_fixed_size: 16640
    .kernarg_segment_align: 8
    .kernarg_segment_size: 32
    .language:       OpenCL C
    .language_version:
      - 2
      - 0
    .max_flat_workgroup_size: 1024
    .name:           _Z6Match6PKfS0_PfPi
    .private_segment_fixed_size: 0
    .sgpr_count:     14
    .sgpr_spill_count: 0
    .symbol:         _Z6Match6PKfS0_PfPi.kd
    .uniform_work_group_size: 1
    .uses_dynamic_stack: false
    .vgpr_count:     55
    .vgpr_spill_count: 0
    .wavefront_size: 32
    .workgroup_processor_mode: 1
  - .args:
      - .actual_access:  read_only
        .address_space:  global
        .offset:         0
        .size:           8
        .value_kind:     global_buffer
      - .actual_access:  read_only
        .address_space:  global
        .offset:         8
        .size:           8
        .value_kind:     global_buffer
      - .actual_access:  write_only
        .address_space:  global
        .offset:         16
        .size:           8
        .value_kind:     global_buffer
      - .actual_access:  write_only
        .address_space:  global
        .offset:         24
        .size:           8
        .value_kind:     global_buffer
    .group_segment_fixed_size: 32768
    .kernarg_segment_align: 8
    .kernarg_segment_size: 32
    .language:       OpenCL C
    .language_version:
      - 2
      - 0
    .max_flat_workgroup_size: 1024
    .name:           _Z6Match7PKfS0_PfPi
    .private_segment_fixed_size: 0
    .sgpr_count:     14
    .sgpr_spill_count: 0
    .symbol:         _Z6Match7PKfS0_PfPi.kd
    .uniform_work_group_size: 1
    .uses_dynamic_stack: false
    .vgpr_count:     57
    .vgpr_spill_count: 0
    .wavefront_size: 32
    .workgroup_processor_mode: 1
  - .args:
      - .actual_access:  read_only
        .address_space:  global
        .offset:         0
        .size:           8
        .value_kind:     global_buffer
      - .actual_access:  read_only
        .address_space:  global
        .offset:         8
        .size:           8
        .value_kind:     global_buffer
      - .actual_access:  write_only
        .address_space:  global
        .offset:         16
        .size:           8
        .value_kind:     global_buffer
      - .actual_access:  write_only
        .address_space:  global
        .offset:         24
        .size:           8
        .value_kind:     global_buffer
    .group_segment_fixed_size: 32768
    .kernarg_segment_align: 8
    .kernarg_segment_size: 32
    .language:       OpenCL C
    .language_version:
      - 2
      - 0
    .max_flat_workgroup_size: 1024
    .name:           _Z6Match8PKfS0_PfPi
    .private_segment_fixed_size: 0
    .sgpr_count:     16
    .sgpr_spill_count: 0
    .symbol:         _Z6Match8PKfS0_PfPi.kd
    .uniform_work_group_size: 1
    .uses_dynamic_stack: false
    .vgpr_count:     41
    .vgpr_spill_count: 0
    .wavefront_size: 32
    .workgroup_processor_mode: 1
  - .args:
      - .actual_access:  read_only
        .address_space:  global
        .offset:         0
        .size:           8
        .value_kind:     global_buffer
      - .actual_access:  read_only
        .address_space:  global
        .offset:         8
        .size:           8
        .value_kind:     global_buffer
      - .actual_access:  write_only
        .address_space:  global
        .offset:         16
        .size:           8
        .value_kind:     global_buffer
      - .actual_access:  write_only
        .address_space:  global
        .offset:         24
        .size:           8
        .value_kind:     global_buffer
    .group_segment_fixed_size: 32768
    .kernarg_segment_align: 8
    .kernarg_segment_size: 32
    .language:       OpenCL C
    .language_version:
      - 2
      - 0
    .max_flat_workgroup_size: 1024
    .name:           _Z6Match9PKfS0_PfPi
    .private_segment_fixed_size: 0
    .sgpr_count:     20
    .sgpr_spill_count: 0
    .symbol:         _Z6Match9PKfS0_PfPi.kd
    .uniform_work_group_size: 1
    .uses_dynamic_stack: false
    .vgpr_count:     42
    .vgpr_spill_count: 0
    .wavefront_size: 32
    .workgroup_processor_mode: 1
  - .args:
      - .actual_access:  read_only
        .address_space:  global
        .offset:         0
        .size:           8
        .value_kind:     global_buffer
      - .actual_access:  read_only
        .address_space:  global
        .offset:         8
        .size:           8
        .value_kind:     global_buffer
      - .actual_access:  write_only
        .address_space:  global
        .offset:         16
        .size:           8
        .value_kind:     global_buffer
      - .actual_access:  write_only
        .address_space:  global
        .offset:         24
        .size:           8
        .value_kind:     global_buffer
    .group_segment_fixed_size: 20480
    .kernarg_segment_align: 8
    .kernarg_segment_size: 32
    .language:       OpenCL C
    .language_version:
      - 2
      - 0
    .max_flat_workgroup_size: 1024
    .name:           _Z7Match10PKfS0_PfPi
    .private_segment_fixed_size: 0
    .sgpr_count:     15
    .sgpr_spill_count: 0
    .symbol:         _Z7Match10PKfS0_PfPi.kd
    .uniform_work_group_size: 1
    .uses_dynamic_stack: false
    .vgpr_count:     56
    .vgpr_spill_count: 0
    .wavefront_size: 32
    .workgroup_processor_mode: 1
amdhsa.target:   amdgcn-amd-amdhsa--gfx1030
amdhsa.version:
  - 1
  - 2
...

	.end_amdgpu_metadata
